;; amdgpu-corpus repo=ROCm/rocFFT kind=compiled arch=gfx950 opt=O3
	.text
	.amdgcn_target "amdgcn-amd-amdhsa--gfx950"
	.amdhsa_code_object_version 6
	.protected	bluestein_single_fwd_len400_dim1_sp_op_CI_CI ; -- Begin function bluestein_single_fwd_len400_dim1_sp_op_CI_CI
	.globl	bluestein_single_fwd_len400_dim1_sp_op_CI_CI
	.p2align	8
	.type	bluestein_single_fwd_len400_dim1_sp_op_CI_CI,@function
bluestein_single_fwd_len400_dim1_sp_op_CI_CI: ; @bluestein_single_fwd_len400_dim1_sp_op_CI_CI
; %bb.0:
	s_load_dwordx4 s[12:15], s[0:1], 0x28
	v_mul_u32_u24_e32 v1, 0x667, v0
	v_lshrrev_b32_e32 v2, 16, v1
	v_mad_u64_u32 v[68:69], s[2:3], s2, 3, v[2:3]
	v_mov_b32_e32 v63, 0
	v_mov_b32_e32 v69, v63
	s_waitcnt lgkmcnt(0)
	v_cmp_gt_u64_e32 vcc, s[12:13], v[68:69]
	s_and_saveexec_b64 s[2:3], vcc
	s_cbranch_execz .LBB0_15
; %bb.1:
	s_load_dwordx4 s[4:7], s[0:1], 0x18
	s_load_dwordx2 s[12:13], s[0:1], 0x0
	v_mul_lo_u16_e32 v1, 40, v2
	v_sub_u16_e32 v62, v0, v1
	v_mov_b32_e32 v4, s14
	s_waitcnt lgkmcnt(0)
	s_load_dwordx4 s[8:11], s[4:5], 0x0
	v_mov_b32_e32 v5, s15
	s_mov_b32 s4, 0xaaaaaaab
	v_mul_hi_u32 v20, v68, s4
	v_lshrrev_b32_e32 v20, 1, v20
	s_waitcnt lgkmcnt(0)
	v_mad_u64_u32 v[0:1], s[2:3], s10, v68, 0
	v_mov_b32_e32 v2, v1
	v_mad_u64_u32 v[2:3], s[2:3], s11, v68, v[2:3]
	v_mov_b32_e32 v1, v2
	;; [unrolled: 2-line block ×3, first 2 shown]
	v_mad_u64_u32 v[6:7], s[2:3], s9, v62, v[6:7]
	s_mul_i32 s2, s9, 0x64
	s_mul_hi_u32 s3, s8, 0x64
	v_mov_b32_e32 v3, v6
	v_lshl_add_u64 v[0:1], v[0:1], 3, v[4:5]
	s_add_i32 s3, s3, s2
	s_mul_i32 s2, s8, 0x64
	v_lshl_add_u64 v[0:1], v[2:3], 3, v[0:1]
	v_lshlrev_b32_e32 v2, 3, v62
	s_lshl_b64 s[10:11], s[2:3], 3
	global_load_dwordx2 v[80:81], v2, s[12:13]
	global_load_dwordx2 v[78:79], v2, s[12:13] offset:800
	global_load_dwordx2 v[4:5], v[0:1], off
	v_lshl_add_u64 v[0:1], v[0:1], 0, s[10:11]
	s_mul_hi_u32 s3, s8, 0xfffffefc
	v_lshl_add_u64 v[6:7], v[0:1], 0, s[10:11]
	s_mul_i32 s2, s9, 0xfffffefc
	s_sub_i32 s3, s3, s8
	global_load_dwordx2 v[8:9], v[0:1], off
	global_load_dwordx2 v[74:75], v2, s[12:13] offset:1600
	v_lshl_add_u64 v[0:1], v[6:7], 0, s[10:11]
	s_add_i32 s9, s3, s2
	s_mulk_i32 s8, 0xfefc
	global_load_dwordx2 v[10:11], v[6:7], off
	global_load_dwordx2 v[12:13], v[0:1], off
	global_load_dwordx2 v[70:71], v2, s[12:13] offset:2400
	v_lshl_add_u64 v[0:1], s[8:9], 3, v[0:1]
	global_load_dwordx2 v[6:7], v[0:1], off
	global_load_dwordx2 v[66:67], v2, s[12:13] offset:1120
	global_load_dwordx2 v[76:77], v2, s[12:13] offset:320
	v_lshl_add_u64 v[0:1], v[0:1], 0, s[10:11]
	global_load_dwordx2 v[14:15], v[0:1], off
	v_lshl_add_u64 v[0:1], v[0:1], 0, s[10:11]
	global_load_dwordx2 v[16:17], v[0:1], off
	global_load_dwordx2 v[64:65], v2, s[12:13] offset:2720
	global_load_dwordx2 v[72:73], v2, s[12:13] offset:1920
	v_lshl_add_u64 v[0:1], v[0:1], 0, s[10:11]
	global_load_dwordx2 v[18:19], v[0:1], off
	v_lshl_add_u32 v20, v20, 1, v20
	v_sub_u32_e32 v20, v68, v20
	v_mul_u32_u24_e32 v20, 0x190, v20
	v_mov_b32_e32 v3, v63
	v_lshlrev_b32_e32 v42, 3, v20
	v_lshl_add_u64 v[60:61], s[12:13], 0, v[2:3]
	v_add_u32_e32 v69, v2, v42
	s_load_dwordx2 s[2:3], s[0:1], 0x38
	v_cmp_gt_u16_e32 vcc, 20, v62
	s_load_dwordx4 s[4:7], s[6:7], 0x0
	s_waitcnt vmcnt(13)
	v_mul_f32_e32 v2, v5, v81
	v_mul_f32_e32 v3, v4, v81
	v_fmac_f32_e32 v2, v4, v80
	v_fma_f32 v3, v5, v80, -v3
	s_waitcnt vmcnt(12)
	v_mul_f32_e32 v4, v9, v79
	v_mul_f32_e32 v5, v8, v79
	v_fmac_f32_e32 v4, v8, v78
	v_fma_f32 v5, v9, v78, -v5
	s_waitcnt vmcnt(10)
	v_mul_f32_e32 v8, v11, v75
	v_mul_f32_e32 v9, v10, v75
	ds_write_b64 v69, v[4:5] offset:800
	s_waitcnt vmcnt(8)
	v_mul_f32_e32 v4, v13, v71
	v_mul_f32_e32 v5, v12, v71
	v_fmac_f32_e32 v8, v10, v74
	v_fma_f32 v9, v11, v74, -v9
	v_fmac_f32_e32 v4, v12, v70
	v_fma_f32 v5, v13, v70, -v5
	ds_write_b64 v69, v[8:9] offset:1600
	s_waitcnt vmcnt(5)
	v_mul_f32_e32 v8, v7, v77
	v_mul_f32_e32 v9, v6, v77
	ds_write_b64 v69, v[4:5] offset:2400
	s_waitcnt vmcnt(4)
	v_mul_f32_e32 v4, v15, v67
	v_mul_f32_e32 v5, v14, v67
	v_fmac_f32_e32 v8, v6, v76
	v_fma_f32 v9, v7, v76, -v9
	v_fmac_f32_e32 v4, v14, v66
	v_fma_f32 v5, v15, v66, -v5
	ds_write2_b64 v69, v[2:3], v[8:9] offset1:40
	s_waitcnt vmcnt(1)
	v_mul_f32_e32 v2, v17, v73
	v_mul_f32_e32 v3, v16, v73
	ds_write_b64 v69, v[4:5] offset:1120
	s_waitcnt vmcnt(0)
	v_mul_f32_e32 v4, v19, v65
	v_mul_f32_e32 v5, v18, v65
	v_fmac_f32_e32 v2, v16, v72
	v_fma_f32 v3, v17, v72, -v3
	v_fmac_f32_e32 v4, v18, v64
	v_fma_f32 v5, v19, v64, -v5
	ds_write_b64 v69, v[2:3] offset:1920
	ds_write_b64 v69, v[4:5] offset:2720
	s_and_saveexec_b64 s[14:15], vcc
	s_cbranch_execz .LBB0_3
; %bb.2:
	v_lshl_add_u64 v[0:1], s[8:9], 3, v[0:1]
	global_load_dwordx2 v[2:3], v[0:1], off
	global_load_dwordx2 v[4:5], v[60:61], off offset:640
	v_lshl_add_u64 v[0:1], v[0:1], 0, s[10:11]
	global_load_dwordx2 v[6:7], v[0:1], off
	global_load_dwordx2 v[8:9], v[60:61], off offset:1440
	v_lshl_add_u64 v[0:1], v[0:1], 0, s[10:11]
	global_load_dwordx2 v[10:11], v[0:1], off
	global_load_dwordx2 v[12:13], v[60:61], off offset:2240
	global_load_dwordx2 v[14:15], v[60:61], off offset:3040
	v_lshl_add_u64 v[0:1], v[0:1], 0, s[10:11]
	global_load_dwordx2 v[0:1], v[0:1], off
	s_waitcnt vmcnt(6)
	v_mul_f32_e32 v16, v3, v5
	v_mul_f32_e32 v5, v2, v5
	v_fmac_f32_e32 v16, v2, v4
	v_fma_f32 v17, v3, v4, -v5
	s_waitcnt vmcnt(4)
	v_mul_f32_e32 v2, v7, v9
	v_mul_f32_e32 v3, v6, v9
	v_fmac_f32_e32 v2, v6, v8
	v_fma_f32 v3, v7, v8, -v3
	s_waitcnt vmcnt(2)
	v_mul_f32_e32 v4, v11, v13
	v_mul_f32_e32 v5, v10, v13
	ds_write2_b64 v69, v[16:17], v[2:3] offset0:80 offset1:180
	s_waitcnt vmcnt(0)
	v_mul_f32_e32 v2, v1, v15
	v_mul_f32_e32 v3, v0, v15
	v_fmac_f32_e32 v4, v10, v12
	v_fma_f32 v5, v11, v12, -v5
	v_fmac_f32_e32 v2, v0, v14
	v_fma_f32 v3, v1, v14, -v3
	v_add_u32_e32 v0, 0x800, v69
	ds_write2_b64 v0, v[4:5], v[2:3] offset0:24 offset1:124
.LBB0_3:
	s_or_b64 exec, exec, s[14:15]
	s_waitcnt lgkmcnt(0)
	s_barrier
	ds_read2_b64 v[4:7], v69 offset1:40
	ds_read2_b64 v[8:11], v69 offset0:100 offset1:140
	ds_read2_b64 v[12:15], v69 offset0:200 offset1:240
	v_add_u32_e32 v21, 0x800, v69
	s_load_dwordx2 s[0:1], s[0:1], 0x8
	ds_read2_b64 v[16:19], v21 offset0:44 offset1:84
                                        ; implicit-def: $vgpr0
                                        ; implicit-def: $vgpr20
	s_and_saveexec_b64 s[8:9], vcc
	s_cbranch_execz .LBB0_5
; %bb.4:
	ds_read2_b64 v[0:3], v69 offset0:80 offset1:180
	ds_read2_b64 v[20:23], v21 offset0:24 offset1:124
.LBB0_5:
	s_or_b64 exec, exec, s[8:9]
	s_waitcnt lgkmcnt(0)
	v_pk_add_f32 v[28:29], v[8:9], v[16:17] neg_lo:[0,1] neg_hi:[0,1]
	v_pk_add_f32 v[16:17], v[2:3], v[22:23] neg_lo:[0,1] neg_hi:[0,1]
	;; [unrolled: 1-line block ×5, first 2 shown]
	v_mov_b32_e32 v19, v16
	v_pk_add_f32 v[30:31], v[6:7], v[14:15] neg_lo:[0,1] neg_hi:[0,1]
	v_pk_fma_f32 v[14:15], v[0:1], 2.0, v[12:13] op_sel_hi:[1,0,1] neg_lo:[0,0,1] neg_hi:[0,0,1]
	v_pk_fma_f32 v[0:1], v[2:3], 2.0, v[16:17] op_sel_hi:[1,0,1] neg_lo:[0,0,1] neg_hi:[0,0,1]
	v_mov_b32_e32 v2, v17
	v_mov_b32_e32 v3, v13
	v_pk_add_f32 v[16:17], v[18:19], v[12:13]
	v_pk_add_f32 v[2:3], v[12:13], v[2:3] neg_lo:[0,1] neg_hi:[0,1]
	v_lshlrev_b16_e32 v16, 2, v62
	v_pk_fma_f32 v[4:5], v[4:5], 2.0, v[26:27] op_sel_hi:[1,0,1] neg_lo:[0,0,1] neg_hi:[0,0,1]
	v_pk_fma_f32 v[8:9], v[8:9], 2.0, v[28:29] op_sel_hi:[1,0,1] neg_lo:[0,0,1] neg_hi:[0,0,1]
	v_mov_b32_e32 v3, v17
	v_lshl_add_u32 v118, v16, 3, v42
	v_pk_add_f32 v[16:17], v[4:5], v[8:9] neg_lo:[0,1] neg_hi:[0,1]
	v_pk_add_f32 v[18:19], v[26:27], v[28:29] op_sel:[0,1] op_sel_hi:[1,0] neg_lo:[0,1] neg_hi:[0,1]
	v_pk_fma_f32 v[20:21], v[4:5], 2.0, v[16:17] op_sel_hi:[1,0,1] neg_lo:[0,0,1] neg_hi:[0,0,1]
	v_pk_add_f32 v[4:5], v[26:27], v[28:29] op_sel:[0,1] op_sel_hi:[1,0]
	v_pk_fma_f32 v[6:7], v[6:7], 2.0, v[30:31] op_sel_hi:[1,0,1] neg_lo:[0,0,1] neg_hi:[0,0,1]
	v_mov_b32_e32 v19, v5
	v_pk_fma_f32 v[4:5], v[10:11], 2.0, v[32:33] op_sel_hi:[1,0,1] neg_lo:[0,0,1] neg_hi:[0,0,1]
	v_pk_fma_f32 v[22:23], v[26:27], 2.0, v[18:19] op_sel_hi:[1,0,1] neg_lo:[0,0,1] neg_hi:[0,0,1]
	v_pk_add_f32 v[4:5], v[6:7], v[4:5] neg_lo:[0,1] neg_hi:[0,1]
	s_mov_b64 s[8:9], 0x50
	s_barrier
	ds_write_b128 v118, v[20:23]
	ds_write_b128 v118, v[16:19] offset:16
	v_pk_fma_f32 v[8:9], v[6:7], 2.0, v[4:5] op_sel_hi:[1,0,1] neg_lo:[0,0,1] neg_hi:[0,0,1]
	v_pk_add_f32 v[6:7], v[30:31], v[32:33] op_sel:[0,1] op_sel_hi:[1,0] neg_lo:[0,1] neg_hi:[0,1]
	v_pk_add_f32 v[16:17], v[30:31], v[32:33] op_sel:[0,1] op_sel_hi:[1,0]
	v_lshl_add_u64 v[24:25], v[62:63], 0, s[8:9]
	v_mov_b32_e32 v7, v17
	v_pk_add_f32 v[0:1], v[14:15], v[0:1] neg_lo:[0,1] neg_hi:[0,1]
	v_lshl_add_u32 v43, v62, 5, v42
	v_pk_fma_f32 v[10:11], v[30:31], 2.0, v[6:7] op_sel_hi:[1,0,1] neg_lo:[0,0,1] neg_hi:[0,0,1]
	v_lshl_add_u32 v63, v24, 5, v42
	ds_write_b128 v43, v[8:11] offset:1280
	ds_write_b128 v43, v[4:7] offset:1296
	s_and_saveexec_b64 s[8:9], vcc
	s_cbranch_execz .LBB0_7
; %bb.6:
	v_pk_fma_f32 v[4:5], v[14:15], 2.0, v[0:1] op_sel_hi:[1,0,1] neg_lo:[0,0,1] neg_hi:[0,0,1]
	v_pk_fma_f32 v[6:7], v[12:13], 2.0, v[2:3] op_sel_hi:[1,0,1] neg_lo:[0,0,1] neg_hi:[0,0,1]
	ds_write_b128 v63, v[4:7]
	ds_write_b128 v63, v[0:3] offset:16
.LBB0_7:
	s_or_b64 exec, exec, s[8:9]
	v_and_b32_e32 v39, 3, v62
	s_movk_i32 s9, 0x48
	v_mov_b64_e32 v[20:21], s[0:1]
	v_mad_u64_u32 v[22:23], s[0:1], v39, s9, v[20:21]
	s_waitcnt lgkmcnt(0)
	s_barrier
	global_load_dwordx4 v[16:19], v[22:23], off
	global_load_dwordx4 v[12:15], v[22:23], off offset:16
	global_load_dwordx4 v[8:11], v[22:23], off offset:32
	global_load_dwordx4 v[4:7], v[22:23], off offset:48
	global_load_dwordx2 v[82:83], v[22:23], off offset:64
	v_add_u32_e32 v38, 0x400, v69
	ds_read2_b64 v[22:25], v69 offset0:80 offset1:120
	ds_read2_b64 v[26:29], v69 offset0:160 offset1:200
	v_add_u32_e32 v56, 0x800, v69
	ds_read2_b64 v[30:33], v69 offset1:40
	ds_read2_b64 v[34:37], v38 offset0:112 offset1:152
	ds_read2_b64 v[44:47], v56 offset0:64 offset1:104
	s_mov_b32 s0, 0x3f737871
	s_mov_b32 s8, 0x3f167918
	;; [unrolled: 1-line block ×4, first 2 shown]
	s_waitcnt lgkmcnt(0)
	s_barrier
	s_mov_b32 s16, 0xbf737871
	s_mov_b32 s17, s0
	;; [unrolled: 1-line block ×4, first 2 shown]
	s_waitcnt vmcnt(4)
	v_mov_b32_e32 v40, v19
	s_waitcnt vmcnt(3)
	v_pk_mul_f32 v[48:49], v[24:25], v[12:13] op_sel:[0,1]
	v_mov_b32_e32 v50, v15
	s_waitcnt vmcnt(2)
	v_pk_mul_f32 v[52:53], v[28:29], v[8:9] op_sel:[0,1]
	;; [unrolled: 3-line block ×4, first 2 shown]
	v_pk_mul_f32 v[88:89], v[32:33], v[16:17] op_sel:[0,1]
	v_pk_mul_f32 v[40:41], v[22:23], v[40:41] op_sel_hi:[1,0]
	v_pk_fma_f32 v[90:91], v[24:25], v[12:13], v[48:49] op_sel:[0,0,1] op_sel_hi:[1,1,0] neg_lo:[0,0,1] neg_hi:[0,0,1]
	v_pk_fma_f32 v[24:25], v[24:25], v[12:13], v[48:49] op_sel:[0,0,1] op_sel_hi:[1,0,0]
	v_pk_mul_f32 v[48:49], v[26:27], v[50:51] op_sel_hi:[1,0]
	v_pk_fma_f32 v[50:51], v[28:29], v[8:9], v[52:53] op_sel:[0,0,1] op_sel_hi:[1,1,0] neg_lo:[0,0,1] neg_hi:[0,0,1]
	v_pk_fma_f32 v[28:29], v[28:29], v[8:9], v[52:53] op_sel:[0,0,1] op_sel_hi:[1,0,0]
	;; [unrolled: 3-line block ×4, first 2 shown]
	v_pk_fma_f32 v[86:87], v[32:33], v[16:17], v[88:89] op_sel:[0,0,1] op_sel_hi:[1,1,0] neg_lo:[0,0,1] neg_hi:[0,0,1]
	v_pk_fma_f32 v[32:33], v[32:33], v[16:17], v[88:89] op_sel:[0,0,1] op_sel_hi:[1,0,0]
	v_pk_fma_f32 v[88:89], v[22:23], v[18:19], v[40:41] op_sel:[0,0,1] op_sel_hi:[1,1,0] neg_lo:[0,0,1] neg_hi:[0,0,1]
	v_pk_fma_f32 v[22:23], v[22:23], v[18:19], v[40:41] op_sel:[0,0,1] op_sel_hi:[1,0,0]
	;; [unrolled: 2-line block ×5, first 2 shown]
	v_mov_b32_e32 v91, v25
	v_mov_b32_e32 v51, v29
	;; [unrolled: 1-line block ×9, first 2 shown]
	v_pk_add_f32 v[22:23], v[50:51], v[54:55]
	v_pk_add_f32 v[24:25], v[90:91], v[50:51] neg_lo:[0,1] neg_hi:[0,1]
	v_pk_add_f32 v[26:27], v[84:85], v[54:55] neg_lo:[0,1] neg_hi:[0,1]
	;; [unrolled: 1-line block ×5, first 2 shown]
	v_pk_add_f32 v[24:25], v[24:25], v[26:27]
	v_pk_add_f32 v[26:27], v[52:53], v[48:49] neg_lo:[0,1] neg_hi:[0,1]
	v_pk_fma_f32 v[22:23], v[22:23], 0.5, v[86:87] op_sel_hi:[1,0,1] neg_lo:[1,0,0] neg_hi:[1,0,0]
	v_pk_mul_f32 v[36:37], v[28:29], s[0:1] op_sel_hi:[1,0]
	v_pk_mul_f32 v[58:59], v[32:33], s[8:9] op_sel_hi:[1,0]
	v_pk_add_f32 v[26:27], v[34:35], v[26:27]
	v_pk_add_f32 v[34:35], v[22:23], v[36:37] op_sel:[0,1] op_sel_hi:[1,0]
	v_pk_add_f32 v[22:23], v[22:23], v[36:37] op_sel:[0,1] op_sel_hi:[1,0] neg_lo:[0,1] neg_hi:[0,1]
	v_pk_add_f32 v[44:45], v[40:41], v[48:49]
	v_pk_add_f32 v[46:47], v[88:89], v[52:53] neg_lo:[0,1] neg_hi:[0,1]
	v_pk_add_f32 v[22:23], v[22:23], v[58:59] op_sel:[0,1] op_sel_hi:[1,0] neg_lo:[0,1] neg_hi:[0,1]
	v_pk_add_f32 v[34:35], v[34:35], v[58:59] op_sel:[0,1] op_sel_hi:[1,0]
	v_pk_add_f32 v[92:93], v[40:41], v[48:49] neg_lo:[0,1] neg_hi:[0,1]
	v_pk_fma_f32 v[36:37], v[44:45], 0.5, v[30:31] op_sel_hi:[1,0,1] neg_lo:[1,0,0] neg_hi:[1,0,0]
	v_pk_mul_f32 v[44:45], v[46:47], s[0:1] op_sel_hi:[1,0]
	v_mov_b32_e32 v58, v34
	v_mov_b32_e32 v59, v23
	v_pk_mul_f32 v[94:95], v[92:93], s[8:9] op_sel_hi:[1,0]
	v_pk_add_f32 v[96:97], v[36:37], v[44:45] op_sel:[0,1] op_sel_hi:[1,0]
	v_pk_add_f32 v[36:37], v[36:37], v[44:45] op_sel:[0,1] op_sel_hi:[1,0] neg_lo:[0,1] neg_hi:[0,1]
	v_pk_fma_f32 v[58:59], v[24:25], s[10:11], v[58:59] op_sel_hi:[1,0,1]
	v_pk_add_f32 v[36:37], v[36:37], v[94:95] op_sel:[0,1] op_sel_hi:[1,0] neg_lo:[0,1] neg_hi:[0,1]
	v_pk_add_f32 v[44:45], v[96:97], v[94:95] op_sel:[0,1] op_sel_hi:[1,0]
	v_pk_mul_f32 v[94:95], v[58:59], s[8:9] op_sel_hi:[1,0]
	v_lshrrev_b32_e32 v23, 2, v62
	v_pk_fma_f32 v[96:97], v[58:59], s[14:15], v[94:95] op_sel:[0,0,1] op_sel_hi:[1,0,0]
	v_pk_fma_f32 v[58:59], v[58:59], s[14:15], v[94:95] op_sel:[0,0,1] op_sel_hi:[1,0,0] neg_lo:[0,0,1] neg_hi:[0,0,1]
	v_pk_add_f32 v[94:95], v[86:87], v[90:91]
	v_mov_b32_e32 v97, v59
	v_pk_add_f32 v[58:59], v[30:31], v[88:89]
	v_pk_add_f32 v[94:95], v[94:95], v[50:51]
	;; [unrolled: 1-line block ×3, first 2 shown]
	v_mul_u32_u24_e32 v23, 40, v23
	v_pk_add_f32 v[58:59], v[58:59], v[48:49]
	v_pk_add_f32 v[94:95], v[94:95], v[54:55]
	v_mov_b32_e32 v98, v44
	v_mov_b32_e32 v99, v37
	v_or_b32_e32 v23, v23, v39
	v_pk_add_f32 v[58:59], v[58:59], v[52:53]
	v_pk_add_f32 v[94:95], v[94:95], v[84:85]
	v_pk_fma_f32 v[98:99], v[26:27], s[10:11], v[98:99] op_sel_hi:[1,0,1]
	v_lshl_add_u32 v119, v23, 3, v42
	v_pk_add_f32 v[100:101], v[58:59], v[94:95]
	v_pk_add_f32 v[102:103], v[98:99], v[96:97]
	v_pk_add_f32 v[40:41], v[40:41], v[88:89] neg_lo:[0,1] neg_hi:[0,1]
	v_pk_add_f32 v[48:49], v[48:49], v[52:53] neg_lo:[0,1] neg_hi:[0,1]
	ds_write2_b64 v119, v[100:101], v[102:103] offset1:4
	v_pk_add_f32 v[100:101], v[88:89], v[52:53]
	v_pk_add_f32 v[40:41], v[40:41], v[48:49]
	;; [unrolled: 1-line block ×3, first 2 shown]
	v_pk_add_f32 v[50:51], v[50:51], v[90:91] neg_lo:[0,1] neg_hi:[0,1]
	v_pk_add_f32 v[52:53], v[54:55], v[84:85] neg_lo:[0,1] neg_hi:[0,1]
	v_pk_fma_f32 v[30:31], v[100:101], 0.5, v[30:31] op_sel_hi:[1,0,1] neg_lo:[1,0,0] neg_hi:[1,0,0]
	v_pk_fma_f32 v[48:49], v[48:49], 0.5, v[86:87] op_sel_hi:[1,0,1] neg_lo:[1,0,0] neg_hi:[1,0,0]
	v_pk_add_f32 v[50:51], v[50:51], v[52:53]
	v_pk_mul_f32 v[52:53], v[92:93], s[0:1] op_sel_hi:[1,0]
	v_pk_mul_f32 v[32:33], v[32:33], s[0:1] op_sel_hi:[1,0]
	v_pk_add_f32 v[54:55], v[30:31], v[52:53] op_sel:[0,1] op_sel_hi:[1,0] neg_lo:[0,1] neg_hi:[0,1]
	v_pk_add_f32 v[30:31], v[30:31], v[52:53] op_sel:[0,1] op_sel_hi:[1,0]
	v_pk_add_f32 v[52:53], v[48:49], v[32:33] op_sel:[0,1] op_sel_hi:[1,0] neg_lo:[0,1] neg_hi:[0,1]
	v_pk_add_f32 v[32:33], v[48:49], v[32:33] op_sel:[0,1] op_sel_hi:[1,0]
	v_pk_mul_f32 v[28:29], v[28:29], s[8:9] op_sel_hi:[1,0]
	v_pk_mul_f32 v[46:47], v[46:47], s[8:9] op_sel_hi:[1,0]
	v_pk_add_f32 v[32:33], v[32:33], v[28:29] op_sel:[0,1] op_sel_hi:[1,0] neg_lo:[0,1] neg_hi:[0,1]
	v_pk_add_f32 v[28:29], v[52:53], v[28:29] op_sel:[0,1] op_sel_hi:[1,0]
	v_mov_b32_e32 v49, v33
	v_mov_b32_e32 v48, v28
	v_pk_fma_f32 v[48:49], v[50:51], s[10:11], v[48:49] op_sel_hi:[1,0,1]
	v_mov_b32_e32 v33, v29
	v_pk_mul_f32 v[52:53], v[48:49], s[0:1] op_sel_hi:[1,0]
	v_pk_add_f32 v[30:31], v[30:31], v[46:47] op_sel:[0,1] op_sel_hi:[1,0] neg_lo:[0,1] neg_hi:[0,1]
	v_pk_add_f32 v[46:47], v[54:55], v[46:47] op_sel:[0,1] op_sel_hi:[1,0]
	v_pk_fma_f32 v[54:55], v[48:49], s[10:11], v[52:53] op_sel:[0,0,1] op_sel_hi:[1,0,0]
	v_pk_fma_f32 v[48:49], v[48:49], s[10:11], v[52:53] op_sel:[0,0,1] op_sel_hi:[1,0,0] neg_lo:[0,0,1] neg_hi:[0,0,1]
	v_pk_fma_f32 v[28:29], v[50:51], s[10:11], v[32:33] op_sel_hi:[1,0,1]
	v_mov_b32_e32 v23, v35
	v_mov_b32_e32 v55, v49
	;; [unrolled: 1-line block ×5, first 2 shown]
	v_pk_mul_f32 v[32:33], v[28:29], s[10:11] op_sel_hi:[1,0]
	v_pk_fma_f32 v[22:23], v[24:25], s[10:11], v[22:23] op_sel_hi:[1,0,1]
	v_pk_fma_f32 v[46:47], v[40:41], s[10:11], v[48:49] op_sel_hi:[1,0,1]
	;; [unrolled: 1-line block ×3, first 2 shown]
	v_pk_fma_f32 v[28:29], v[28:29], s[16:17], v[32:33] op_sel:[0,0,1] op_sel_hi:[1,1,0] neg_lo:[0,0,1] neg_hi:[0,0,1]
	v_mov_b32_e32 v37, v45
	v_pk_mul_f32 v[24:25], v[22:23], s[14:15] op_sel_hi:[1,0]
	v_pk_add_f32 v[32:33], v[46:47], v[54:55]
	v_pk_add_f32 v[40:41], v[30:31], v[28:29] op_sel:[0,1] op_sel_hi:[1,0]
	v_pk_fma_f32 v[26:27], v[26:27], s[10:11], v[36:37] op_sel_hi:[1,0,1]
	v_pk_fma_f32 v[22:23], v[22:23], s[18:19], v[24:25] op_sel:[0,0,1] op_sel_hi:[1,1,0] neg_lo:[0,0,1] neg_hi:[0,0,1]
	ds_write2_b64 v119, v[32:33], v[40:41] offset0:8 offset1:12
	v_pk_add_f32 v[24:25], v[26:27], v[22:23] op_sel:[0,1] op_sel_hi:[1,0]
	v_pk_add_f32 v[32:33], v[58:59], v[94:95] neg_lo:[0,1] neg_hi:[0,1]
	ds_write2_b64 v119, v[24:25], v[32:33] offset0:16 offset1:20
	v_pk_add_f32 v[24:25], v[98:99], v[96:97] neg_lo:[0,1] neg_hi:[0,1]
	v_pk_add_f32 v[32:33], v[46:47], v[54:55] neg_lo:[0,1] neg_hi:[0,1]
	ds_write2_b64 v119, v[24:25], v[32:33] offset0:24 offset1:28
	v_pk_add_f32 v[24:25], v[30:31], v[28:29] op_sel:[0,1] op_sel_hi:[1,0] neg_lo:[0,1] neg_hi:[0,1]
	v_pk_add_f32 v[22:23], v[26:27], v[22:23] op_sel:[0,1] op_sel_hi:[1,0] neg_lo:[0,1] neg_hi:[0,1]
	v_mad_u64_u32 v[36:37], s[20:21], v62, s9, v[20:21]
	ds_write2_b64 v119, v[24:25], v[22:23] offset0:32 offset1:36
	s_waitcnt lgkmcnt(0)
	s_barrier
	global_load_dwordx4 v[28:31], v[36:37], off offset:288
	global_load_dwordx4 v[24:27], v[36:37], off offset:304
	;; [unrolled: 1-line block ×4, first 2 shown]
	global_load_dwordx2 v[84:85], v[36:37], off offset:352
	ds_read2_b64 v[44:47], v69 offset0:80 offset1:120
	ds_read2_b64 v[48:51], v69 offset0:160 offset1:200
	s_waitcnt vmcnt(4)
	v_mov_b32_e32 v36, v31
	s_waitcnt lgkmcnt(1)
	v_pk_mul_f32 v[36:37], v[44:45], v[36:37] op_sel_hi:[1,0]
	s_nop 0
	v_pk_fma_f32 v[40:41], v[44:45], v[30:31], v[36:37] op_sel:[0,0,1] op_sel_hi:[1,1,0] neg_lo:[0,0,1] neg_hi:[0,0,1]
	v_pk_fma_f32 v[36:37], v[44:45], v[30:31], v[36:37] op_sel:[0,0,1] op_sel_hi:[1,0,0]
	s_waitcnt vmcnt(3)
	v_pk_mul_f32 v[44:45], v[46:47], v[24:25] op_sel:[0,1]
	v_mov_b32_e32 v36, v27
	v_pk_fma_f32 v[52:53], v[46:47], v[24:25], v[44:45] op_sel:[0,0,1] op_sel_hi:[1,1,0] neg_lo:[0,0,1] neg_hi:[0,0,1]
	v_pk_fma_f32 v[54:55], v[46:47], v[24:25], v[44:45] op_sel:[0,0,1] op_sel_hi:[1,0,0]
	s_waitcnt lgkmcnt(0)
	v_pk_mul_f32 v[44:45], v[48:49], v[36:37] op_sel_hi:[1,0]
	s_waitcnt vmcnt(2)
	v_mov_b32_e32 v36, v23
	v_pk_fma_f32 v[58:59], v[48:49], v[26:27], v[44:45] op_sel:[0,0,1] op_sel_hi:[1,1,0] neg_lo:[0,0,1] neg_hi:[0,0,1]
	v_pk_fma_f32 v[86:87], v[48:49], v[26:27], v[44:45] op_sel:[0,0,1] op_sel_hi:[1,0,0]
	ds_read2_b64 v[44:47], v38 offset0:112 offset1:152
	v_pk_mul_f32 v[48:49], v[50:51], v[20:21] op_sel:[0,1]
	v_mov_b32_e32 v41, v37
	v_pk_fma_f32 v[88:89], v[50:51], v[20:21], v[48:49] op_sel:[0,0,1] op_sel_hi:[1,1,0] neg_lo:[0,0,1] neg_hi:[0,0,1]
	v_pk_fma_f32 v[90:91], v[50:51], v[20:21], v[48:49] op_sel:[0,0,1] op_sel_hi:[1,0,0]
	s_waitcnt lgkmcnt(0)
	v_pk_mul_f32 v[48:49], v[44:45], v[36:37] op_sel_hi:[1,0]
	s_waitcnt vmcnt(1)
	v_mov_b32_e32 v36, v35
	v_pk_fma_f32 v[92:93], v[44:45], v[22:23], v[48:49] op_sel:[0,0,1] op_sel_hi:[1,1,0] neg_lo:[0,0,1] neg_hi:[0,0,1]
	v_pk_fma_f32 v[94:95], v[44:45], v[22:23], v[48:49] op_sel:[0,0,1] op_sel_hi:[1,0,0]
	ds_read2_b64 v[48:51], v56 offset0:64 offset1:104
	v_pk_mul_f32 v[44:45], v[46:47], v[32:33] op_sel:[0,1]
	v_mov_b32_e32 v59, v87
	v_pk_fma_f32 v[96:97], v[46:47], v[32:33], v[44:45] op_sel:[0,0,1] op_sel_hi:[1,1,0] neg_lo:[0,0,1] neg_hi:[0,0,1]
	v_pk_fma_f32 v[98:99], v[46:47], v[32:33], v[44:45] op_sel:[0,0,1] op_sel_hi:[1,0,0]
	ds_read2_b64 v[44:47], v69 offset1:40
	s_waitcnt lgkmcnt(1)
	v_pk_mul_f32 v[100:101], v[48:49], v[36:37] op_sel_hi:[1,0]
	v_mov_b32_e32 v36, v37
	v_pk_fma_f32 v[102:103], v[48:49], v[34:35], v[100:101] op_sel:[0,0,1] op_sel_hi:[1,1,0] neg_lo:[0,0,1] neg_hi:[0,0,1]
	v_pk_fma_f32 v[48:49], v[48:49], v[34:35], v[100:101] op_sel:[0,0,1] op_sel_hi:[1,0,0]
	s_waitcnt vmcnt(0)
	v_pk_mul_f32 v[100:101], v[50:51], v[84:85] op_sel:[0,1]
	v_mov_b32_e32 v37, v40
	v_pk_fma_f32 v[104:105], v[50:51], v[84:85], v[100:101] op_sel:[0,0,1] op_sel_hi:[1,1,0] neg_lo:[0,0,1] neg_hi:[0,0,1]
	v_pk_fma_f32 v[50:51], v[50:51], v[84:85], v[100:101] op_sel:[0,0,1] op_sel_hi:[1,0,0]
	s_waitcnt lgkmcnt(0)
	v_pk_mul_f32 v[100:101], v[46:47], v[28:29] op_sel:[0,1]
	v_mov_b32_e32 v103, v49
	v_pk_fma_f32 v[106:107], v[46:47], v[28:29], v[100:101] op_sel:[0,0,1] op_sel_hi:[1,1,0] neg_lo:[0,0,1] neg_hi:[0,0,1]
	v_pk_fma_f32 v[46:47], v[46:47], v[28:29], v[100:101] op_sel:[0,0,1] op_sel_hi:[1,0,0]
	v_mov_b32_e32 v93, v95
	v_mov_b32_e32 v107, v47
	;; [unrolled: 1-line block ×4, first 2 shown]
	v_pk_add_f32 v[36:37], v[36:37], v[46:47] neg_lo:[0,1] neg_hi:[0,1]
	v_mov_b32_e32 v46, v87
	v_mov_b32_e32 v47, v58
	;; [unrolled: 1-line block ×5, first 2 shown]
	v_pk_add_f32 v[46:47], v[46:47], v[48:49] neg_lo:[0,1] neg_hi:[0,1]
	v_pk_add_f32 v[48:49], v[40:41], v[58:59] neg_lo:[0,1] neg_hi:[0,1]
	v_pk_add_f32 v[50:51], v[102:103], v[92:93] neg_lo:[0,1] neg_hi:[0,1]
	v_mov_b32_e32 v53, v55
	v_pk_add_f32 v[48:49], v[48:49], v[50:51]
	v_pk_add_f32 v[50:51], v[58:59], v[92:93]
	;; [unrolled: 1-line block ×3, first 2 shown]
	v_pk_fma_f32 v[50:51], v[50:51], 0.5, v[44:45] op_sel_hi:[1,0,1] neg_lo:[1,0,0] neg_hi:[1,0,0]
	v_pk_fma_f32 v[54:55], v[54:55], 0.5, v[44:45] op_sel_hi:[1,0,1] neg_lo:[1,0,0] neg_hi:[1,0,0]
	v_pk_fma_f32 v[86:87], v[36:37], s[0:1], v[50:51] op_sel_hi:[1,0,1] neg_lo:[1,0,0] neg_hi:[1,0,0]
	v_pk_fma_f32 v[50:51], v[36:37], s[0:1], v[50:51] op_sel_hi:[1,0,1]
	v_mov_b32_e32 v89, v91
	v_mov_b32_e32 v97, v99
	v_pk_fma_f32 v[50:51], v[46:47], s[8:9], v[50:51] op_sel_hi:[1,0,1]
	v_pk_fma_f32 v[86:87], v[46:47], s[8:9], v[86:87] op_sel_hi:[1,0,1] neg_lo:[1,0,0] neg_hi:[1,0,0]
	v_pk_fma_f32 v[90:91], v[46:47], s[0:1], v[54:55] op_sel_hi:[1,0,1]
	v_pk_fma_f32 v[46:47], v[46:47], s[0:1], v[54:55] op_sel_hi:[1,0,1] neg_lo:[1,0,0] neg_hi:[1,0,0]
	v_pk_add_f32 v[54:55], v[52:53], v[88:89] neg_lo:[0,1] neg_hi:[0,1]
	v_pk_fma_f32 v[46:47], v[36:37], s[8:9], v[46:47] op_sel_hi:[1,0,1]
	v_pk_fma_f32 v[36:37], v[36:37], s[8:9], v[90:91] op_sel_hi:[1,0,1] neg_lo:[1,0,0] neg_hi:[1,0,0]
	v_pk_add_f32 v[90:91], v[104:105], v[96:97] neg_lo:[0,1] neg_hi:[0,1]
	v_pk_add_f32 v[94:95], v[52:53], v[104:105] neg_lo:[0,1] neg_hi:[0,1]
	v_pk_add_f32 v[54:55], v[54:55], v[90:91]
	v_pk_add_f32 v[90:91], v[88:89], v[96:97]
	v_pk_mul_f32 v[98:99], v[94:95], s[0:1] op_sel_hi:[1,0]
	v_pk_fma_f32 v[90:91], v[90:91], 0.5, v[106:107] op_sel_hi:[1,0,1] neg_lo:[1,0,0] neg_hi:[1,0,0]
	v_pk_add_f32 v[108:109], v[88:89], v[96:97] neg_lo:[0,1] neg_hi:[0,1]
	v_pk_add_f32 v[100:101], v[90:91], v[98:99] op_sel:[0,1] op_sel_hi:[1,0] neg_lo:[0,1] neg_hi:[0,1]
	v_pk_add_f32 v[90:91], v[90:91], v[98:99] op_sel:[0,1] op_sel_hi:[1,0]
	v_pk_add_f32 v[98:99], v[52:53], v[104:105]
	v_pk_mul_f32 v[110:111], v[108:109], s[0:1] op_sel_hi:[1,0]
	v_pk_fma_f32 v[98:99], v[98:99], 0.5, v[106:107] op_sel_hi:[1,0,1] neg_lo:[1,0,0] neg_hi:[1,0,0]
	v_pk_mul_f32 v[114:115], v[108:109], s[8:9] op_sel_hi:[1,0]
	v_pk_add_f32 v[112:113], v[110:111], v[98:99] op_sel:[1,0] op_sel_hi:[0,1]
	v_pk_add_f32 v[98:99], v[98:99], v[110:111] op_sel:[0,1] op_sel_hi:[1,0] neg_lo:[0,1] neg_hi:[0,1]
	v_mov_b32_e32 v110, v91
	v_mov_b32_e32 v111, v100
	v_pk_add_f32 v[90:91], v[90:91], v[114:115] op_sel:[0,1] op_sel_hi:[1,0]
	v_pk_add_f32 v[100:101], v[100:101], v[114:115] op_sel:[0,1] op_sel_hi:[1,0] neg_lo:[0,1] neg_hi:[0,1]
	v_pk_add_f32 v[44:45], v[44:45], v[40:41]
	v_mov_b32_e32 v91, v101
	v_pk_fma_f32 v[100:101], v[108:109], s[8:9], v[110:111] op_sel_hi:[1,0,1]
	v_pk_fma_f32 v[108:109], v[108:109], s[8:9], v[110:111] op_sel_hi:[1,0,1] neg_lo:[1,0,0] neg_hi:[1,0,0]
	v_mov_b32_e32 v110, v99
	v_mov_b32_e32 v111, v112
	v_pk_fma_f32 v[114:115], v[94:95], s[8:9], v[110:111] op_sel_hi:[1,0,1]
	v_pk_fma_f32 v[110:111], v[94:95], s[8:9], v[110:111] op_sel_hi:[1,0,1] neg_lo:[1,0,0] neg_hi:[1,0,0]
	v_pk_mul_f32 v[94:95], v[94:95], s[8:9] op_sel_hi:[1,0]
	v_pk_fma_f32 v[90:91], v[54:55], s[10:11], v[90:91] op_sel_hi:[1,0,1]
	s_mov_b32 s9, s18
	v_pk_mul_f32 v[116:117], v[90:91], s[8:9] op_sel_hi:[1,0]
	v_pk_add_f32 v[44:45], v[44:45], v[58:59]
	v_pk_fma_f32 v[120:121], v[90:91], s[14:15], v[116:117] op_sel:[0,0,1] op_sel_hi:[1,0,0]
	v_pk_fma_f32 v[90:91], v[90:91], s[14:15], v[116:117] op_sel:[0,0,1] op_sel_hi:[1,0,0] neg_lo:[0,0,1] neg_hi:[0,0,1]
	v_pk_add_f32 v[40:41], v[58:59], v[40:41] neg_lo:[0,1] neg_hi:[0,1]
	v_pk_add_f32 v[58:59], v[92:93], v[102:103] neg_lo:[0,1] neg_hi:[0,1]
	v_mov_b32_e32 v121, v91
	v_pk_add_f32 v[90:91], v[106:107], v[52:53]
	v_pk_add_f32 v[40:41], v[40:41], v[58:59]
	v_mov_b32_e32 v58, v36
	v_mov_b32_e32 v59, v47
	;; [unrolled: 1-line block ×3, first 2 shown]
	v_pk_add_f32 v[90:91], v[90:91], v[88:89]
	v_pk_add_f32 v[52:53], v[88:89], v[52:53] neg_lo:[0,1] neg_hi:[0,1]
	v_pk_add_f32 v[88:89], v[96:97], v[104:105] neg_lo:[0,1] neg_hi:[0,1]
	v_pk_fma_f32 v[36:37], v[40:41], s[10:11], v[58:59] op_sel_hi:[1,0,1]
	v_pk_fma_f32 v[40:41], v[40:41], s[10:11], v[46:47] op_sel_hi:[1,0,1]
	v_pk_add_f32 v[46:47], v[98:99], v[94:95] op_sel:[0,1] op_sel_hi:[1,0]
	v_pk_add_f32 v[58:59], v[112:113], v[94:95] op_sel:[0,1] op_sel_hi:[1,0] neg_lo:[0,1] neg_hi:[0,1]
	v_pk_add_f32 v[52:53], v[52:53], v[88:89]
	v_mov_b32_e32 v47, v59
	v_mov_b32_e32 v115, v111
	v_pk_fma_f32 v[46:47], v[52:53], s[10:11], v[46:47] op_sel_hi:[1,0,1]
	v_pk_mul_f32 v[52:53], v[52:53], s[10:11] op_sel_hi:[1,0]
	s_mov_b32 s1, s16
	v_pk_add_f32 v[52:53], v[52:53], v[114:115] op_sel:[1,0] op_sel_hi:[0,1]
	v_pk_mul_f32 v[58:59], v[52:53], s[10:11] op_sel_hi:[1,0]
	v_pk_add_f32 v[90:91], v[90:91], v[96:97]
	v_pk_fma_f32 v[52:53], v[52:53], s[0:1], v[58:59] op_sel:[0,0,1] op_sel_hi:[1,1,0] neg_lo:[0,0,1] neg_hi:[0,0,1]
	v_pk_mul_f32 v[58:59], v[46:47], s[0:1] op_sel_hi:[1,0]
	v_pk_add_f32 v[44:45], v[44:45], v[92:93]
	v_mov_b32_e32 v107, v51
	v_mov_b32_e32 v51, v87
	v_pk_fma_f32 v[88:89], v[46:47], s[10:11], v[58:59] op_sel:[0,0,1] op_sel_hi:[1,0,0]
	v_pk_fma_f32 v[46:47], v[46:47], s[10:11], v[58:59] op_sel:[0,0,1] op_sel_hi:[1,0,0] neg_lo:[0,0,1] neg_hi:[0,0,1]
	v_pk_add_f32 v[90:91], v[90:91], v[104:105]
	v_pk_add_f32 v[44:45], v[44:45], v[102:103]
	v_pk_fma_f32 v[50:51], v[48:49], s[10:11], v[50:51] op_sel_hi:[1,0,1]
	v_mov_b32_e32 v89, v47
	v_pk_add_f32 v[116:117], v[44:45], v[90:91]
	v_pk_add_f32 v[122:123], v[50:51], v[120:121]
	;; [unrolled: 1-line block ×4, first 2 shown]
	v_mov_b32_e32 v106, v86
	ds_write2_b64 v69, v[116:117], v[122:123] offset1:40
	ds_write2_b64 v69, v[46:47], v[58:59] offset0:80 offset1:120
	v_pk_fma_f32 v[46:47], v[48:49], s[10:11], v[106:107] op_sel_hi:[1,0,1]
	v_mov_b32_e32 v101, v109
	v_pk_mul_f32 v[48:49], v[54:55], s[10:11] op_sel_hi:[1,0]
	v_pk_add_f32 v[44:45], v[44:45], v[90:91] neg_lo:[0,1] neg_hi:[0,1]
	v_pk_add_f32 v[48:49], v[48:49], v[100:101] op_sel:[1,0] op_sel_hi:[0,1]
	v_pk_mul_f32 v[54:55], v[48:49], s[14:15] op_sel_hi:[1,0]
	v_pk_add_f32 v[36:37], v[36:37], v[52:53] neg_lo:[0,1] neg_hi:[0,1]
	v_pk_fma_f32 v[48:49], v[48:49], s[8:9], v[54:55] op_sel:[0,0,1] op_sel_hi:[1,1,0] neg_lo:[0,0,1] neg_hi:[0,0,1]
	s_add_u32 s0, s12, 0xc80
	v_pk_add_f32 v[54:55], v[46:47], v[48:49]
	ds_write2_b64 v69, v[54:55], v[44:45] offset0:160 offset1:200
	v_pk_add_f32 v[44:45], v[40:41], v[88:89] neg_lo:[0,1] neg_hi:[0,1]
	v_pk_add_f32 v[40:41], v[46:47], v[48:49] neg_lo:[0,1] neg_hi:[0,1]
	;; [unrolled: 1-line block ×3, first 2 shown]
	ds_write2_b64 v38, v[46:47], v[44:45] offset0:112 offset1:152
	ds_write2_b64 v56, v[36:37], v[40:41] offset0:64 offset1:104
	s_waitcnt lgkmcnt(0)
	s_barrier
	global_load_dwordx2 v[48:49], v[60:61], off offset:3200
	s_addc_u32 s1, s13, 0
	v_lshlrev_b32_e32 v38, 3, v62
	global_load_dwordx2 v[52:53], v38, s[0:1] offset:320
	global_load_dwordx2 v[54:55], v38, s[0:1] offset:800
	;; [unrolled: 1-line block ×7, first 2 shown]
	ds_read2_b64 v[44:47], v69 offset1:40
	s_waitcnt vmcnt(6) lgkmcnt(0)
	v_mul_f32_e32 v97, v46, v53
	v_fmac_f32_e32 v97, v47, v52
	v_mul_f32_e32 v39, v45, v49
	v_mul_f32_e32 v95, v44, v49
	v_fma_f32 v94, v44, v48, -v39
	v_fmac_f32_e32 v95, v45, v48
	ds_read2_b64 v[48:51], v69 offset0:100 offset1:140
	v_mul_f32_e32 v39, v47, v53
	v_fma_f32 v96, v46, v52, -v39
	ds_read2_b64 v[44:47], v69 offset0:200 offset1:240
	s_waitcnt vmcnt(5) lgkmcnt(1)
	v_mul_f32_e32 v39, v49, v55
	v_fma_f32 v52, v48, v54, -v39
	v_mul_f32_e32 v53, v48, v55
	s_waitcnt vmcnt(4)
	v_mul_f32_e32 v39, v51, v59
	v_mul_f32_e32 v55, v50, v59
	v_fmac_f32_e32 v53, v49, v54
	v_fma_f32 v54, v50, v58, -v39
	v_fmac_f32_e32 v55, v51, v58
	ds_read2_b64 v[48:51], v56 offset0:44 offset1:84
	s_waitcnt vmcnt(3) lgkmcnt(1)
	v_mul_f32_e32 v39, v45, v87
	v_mul_f32_e32 v59, v44, v87
	v_fma_f32 v58, v44, v86, -v39
	v_fmac_f32_e32 v59, v45, v86
	s_waitcnt vmcnt(2)
	v_mul_f32_e32 v39, v47, v89
	v_mul_f32_e32 v45, v46, v89
	v_fma_f32 v44, v46, v88, -v39
	v_fmac_f32_e32 v45, v47, v88
	s_waitcnt vmcnt(1) lgkmcnt(0)
	v_mul_f32_e32 v39, v49, v91
	v_mul_f32_e32 v47, v48, v91
	v_fma_f32 v46, v48, v90, -v39
	v_fmac_f32_e32 v47, v49, v90
	s_waitcnt vmcnt(0)
	v_mul_f32_e32 v39, v51, v93
	v_mul_f32_e32 v49, v50, v93
	v_fma_f32 v48, v50, v92, -v39
	v_fmac_f32_e32 v49, v51, v92
	ds_write2_b64 v69, v[94:95], v[96:97] offset1:40
	ds_write2_b64 v69, v[52:53], v[54:55] offset0:100 offset1:140
	ds_write2_b64 v69, v[58:59], v[44:45] offset0:200 offset1:240
	;; [unrolled: 1-line block ×3, first 2 shown]
	s_and_saveexec_b64 s[8:9], vcc
	s_cbranch_execz .LBB0_9
; %bb.8:
	v_mov_b32_e32 v39, 0
	v_lshl_add_u64 v[38:39], s[0:1], 0, v[38:39]
	global_load_dwordx2 v[52:53], v[38:39], off offset:640
	global_load_dwordx2 v[54:55], v[38:39], off offset:1440
	;; [unrolled: 1-line block ×4, first 2 shown]
	ds_read2_b64 v[44:47], v69 offset0:80 offset1:180
	ds_read2_b64 v[48:51], v56 offset0:24 offset1:124
	s_waitcnt vmcnt(3) lgkmcnt(1)
	v_mul_f32_e32 v38, v45, v53
	v_mul_f32_e32 v39, v44, v53
	s_waitcnt vmcnt(2)
	v_mul_f32_e32 v57, v47, v55
	v_mul_f32_e32 v53, v46, v55
	s_waitcnt vmcnt(1) lgkmcnt(0)
	v_mul_f32_e32 v88, v49, v59
	v_mul_f32_e32 v55, v48, v59
	s_waitcnt vmcnt(0)
	v_mul_f32_e32 v89, v51, v87
	v_mul_f32_e32 v59, v50, v87
	v_fma_f32 v38, v44, v52, -v38
	v_fmac_f32_e32 v39, v45, v52
	v_fma_f32 v52, v46, v54, -v57
	v_fmac_f32_e32 v53, v47, v54
	;; [unrolled: 2-line block ×4, first 2 shown]
	ds_write2_b64 v69, v[38:39], v[52:53] offset0:80 offset1:180
	ds_write2_b64 v56, v[54:55], v[58:59] offset0:24 offset1:124
.LBB0_9:
	s_or_b64 exec, exec, s[8:9]
	s_waitcnt lgkmcnt(0)
	s_barrier
	ds_read2_b64 v[44:47], v69 offset1:40
	ds_read2_b64 v[48:51], v69 offset0:100 offset1:140
	ds_read2_b64 v[52:55], v69 offset0:200 offset1:240
	;; [unrolled: 1-line block ×3, first 2 shown]
	v_add_u32_e32 v120, 0x500, v43
	s_and_saveexec_b64 s[0:1], vcc
	s_cbranch_execz .LBB0_11
; %bb.10:
	v_lshl_add_u32 v0, v62, 3, v42
	v_add_u32_e32 v1, 0x200, v69
	v_add_u32_e32 v0, 0x400, v0
	ds_read2_b64 v[36:39], v1 offset0:16 offset1:216
	ds_read2_b64 v[40:43], v0 offset0:52 offset1:252
	s_waitcnt lgkmcnt(1)
	v_mov_b64_e32 v[0:1], v[38:39]
	s_waitcnt lgkmcnt(0)
	v_mov_b32_e32 v2, v42
	v_mov_b32_e32 v3, v43
.LBB0_11:
	s_or_b64 exec, exec, s[0:1]
	s_waitcnt lgkmcnt(1)
	v_pk_add_f32 v[122:123], v[44:45], v[52:53] neg_lo:[0,1] neg_hi:[0,1]
	s_waitcnt lgkmcnt(0)
	v_pk_add_f32 v[124:125], v[48:49], v[56:57] neg_lo:[0,1] neg_hi:[0,1]
	v_pk_fma_f32 v[44:45], v[44:45], 2.0, v[122:123] op_sel_hi:[1,0,1] neg_lo:[0,0,1] neg_hi:[0,0,1]
	v_pk_fma_f32 v[48:49], v[48:49], 2.0, v[124:125] op_sel_hi:[1,0,1] neg_lo:[0,0,1] neg_hi:[0,0,1]
	v_pk_add_f32 v[126:127], v[46:47], v[54:55] neg_lo:[0,1] neg_hi:[0,1]
	v_pk_add_f32 v[52:53], v[44:45], v[48:49] neg_lo:[0,1] neg_hi:[0,1]
	;; [unrolled: 1-line block ×3, first 2 shown]
	v_pk_fma_f32 v[56:57], v[44:45], 2.0, v[52:53] op_sel_hi:[1,0,1] neg_lo:[0,0,1] neg_hi:[0,0,1]
	v_pk_add_f32 v[54:55], v[122:123], v[124:125] op_sel:[0,1] op_sel_hi:[1,0]
	v_pk_add_f32 v[44:45], v[122:123], v[124:125] op_sel:[0,1] op_sel_hi:[1,0] neg_lo:[0,1] neg_hi:[0,1]
	v_pk_fma_f32 v[46:47], v[46:47], 2.0, v[126:127] op_sel_hi:[1,0,1] neg_lo:[0,0,1] neg_hi:[0,0,1]
	v_mov_b32_e32 v55, v45
	v_pk_fma_f32 v[44:45], v[50:51], 2.0, v[128:129] op_sel_hi:[1,0,1] neg_lo:[0,0,1] neg_hi:[0,0,1]
	v_pk_fma_f32 v[58:59], v[122:123], 2.0, v[54:55] op_sel_hi:[1,0,1] neg_lo:[0,0,1] neg_hi:[0,0,1]
	v_pk_add_f32 v[44:45], v[46:47], v[44:45] neg_lo:[0,1] neg_hi:[0,1]
	s_barrier
	ds_write_b128 v118, v[56:59]
	ds_write_b128 v118, v[52:55] offset:16
	v_pk_fma_f32 v[48:49], v[46:47], 2.0, v[44:45] op_sel_hi:[1,0,1] neg_lo:[0,0,1] neg_hi:[0,0,1]
	v_pk_add_f32 v[46:47], v[126:127], v[128:129] op_sel:[0,1] op_sel_hi:[1,0]
	v_pk_add_f32 v[52:53], v[126:127], v[128:129] op_sel:[0,1] op_sel_hi:[1,0] neg_lo:[0,1] neg_hi:[0,1]
	v_mov_b32_e32 v116, v16
	v_mov_b32_e32 v47, v53
	;; [unrolled: 1-line block ×55, first 2 shown]
	v_pk_fma_f32 v[50:51], v[126:127], 2.0, v[46:47] op_sel_hi:[1,0,1] neg_lo:[0,0,1] neg_hi:[0,0,1]
	ds_write_b128 v120, v[48:51]
	ds_write_b128 v120, v[44:47] offset:16
	s_and_saveexec_b64 s[0:1], vcc
	s_cbranch_execz .LBB0_13
; %bb.12:
	v_pk_add_f32 v[46:47], v[36:37], v[0:1] neg_lo:[0,1] neg_hi:[0,1]
	v_pk_add_f32 v[48:49], v[40:41], v[2:3] neg_lo:[0,1] neg_hi:[0,1]
	v_pk_fma_f32 v[2:3], v[36:37], 2.0, v[46:47] op_sel_hi:[1,0,1] neg_lo:[0,0,1] neg_hi:[0,0,1]
	v_pk_fma_f32 v[0:1], v[40:41], 2.0, v[48:49] op_sel_hi:[1,0,1] neg_lo:[0,0,1] neg_hi:[0,0,1]
	v_pk_add_f32 v[36:37], v[46:47], v[48:49] op_sel:[0,1] op_sel_hi:[1,0] neg_lo:[0,1] neg_hi:[0,1]
	v_pk_add_f32 v[0:1], v[2:3], v[0:1] neg_lo:[0,1] neg_hi:[0,1]
	s_nop 0
	v_pk_fma_f32 v[44:45], v[2:3], 2.0, v[0:1] op_sel_hi:[1,0,1] neg_lo:[0,0,1] neg_hi:[0,0,1]
	v_pk_add_f32 v[2:3], v[46:47], v[48:49] op_sel:[0,1] op_sel_hi:[1,0]
	s_nop 0
	v_mov_b32_e32 v3, v37
	v_pk_fma_f32 v[46:47], v[46:47], 2.0, v[2:3] op_sel_hi:[1,0,1] neg_lo:[0,0,1] neg_hi:[0,0,1]
	ds_write_b128 v63, v[44:47]
	ds_write_b128 v63, v[0:3] offset:16
.LBB0_13:
	s_or_b64 exec, exec, s[0:1]
	v_add_u32_e32 v36, 0x800, v69
	s_waitcnt lgkmcnt(0)
	s_barrier
	ds_read2_b64 v[44:47], v69 offset1:40
	ds_read2_b64 v[48:51], v69 offset0:80 offset1:120
	ds_read2_b64 v[52:55], v69 offset0:160 offset1:200
	v_add_u32_e32 v37, 0x400, v69
	ds_read2_b64 v[120:123], v36 offset0:64 offset1:104
	ds_read2_b64 v[56:59], v37 offset0:112 offset1:152
	s_waitcnt lgkmcnt(4)
	v_pk_mul_f32 v[16:17], v[16:17], v[46:47]
	s_waitcnt lgkmcnt(3)
	v_pk_mul_f32 v[18:19], v[18:19], v[48:49]
	;; [unrolled: 2-line block ×4, first 2 shown]
	v_pk_fma_f32 v[40:41], v[116:117], v[46:47], v[16:17] op_sel:[0,0,1] op_sel_hi:[1,1,0]
	v_pk_fma_f32 v[16:17], v[116:117], v[46:47], v[16:17] op_sel:[0,0,1] op_sel_hi:[1,1,0] neg_lo:[0,0,1] neg_hi:[0,0,1]
	v_pk_fma_f32 v[46:47], v[114:115], v[48:49], v[18:19] op_sel:[0,0,1] op_sel_hi:[1,1,0]
	v_pk_fma_f32 v[18:19], v[114:115], v[48:49], v[18:19] op_sel:[0,0,1] op_sel_hi:[1,1,0] neg_lo:[0,0,1] neg_hi:[0,0,1]
	v_pk_mul_f32 v[12:13], v[12:13], v[50:51]
	v_pk_fma_f32 v[48:49], v[110:111], v[52:53], v[14:15] op_sel:[0,0,1] op_sel_hi:[1,1,0]
	v_pk_fma_f32 v[14:15], v[110:111], v[52:53], v[14:15] op_sel:[0,0,1] op_sel_hi:[1,1,0] neg_lo:[0,0,1] neg_hi:[0,0,1]
	s_waitcnt lgkmcnt(0)
	v_pk_mul_f32 v[10:11], v[10:11], v[56:57]
	v_pk_fma_f32 v[52:53], v[102:103], v[120:121], v[6:7] op_sel:[0,0,1] op_sel_hi:[1,1,0]
	v_pk_fma_f32 v[6:7], v[102:103], v[120:121], v[6:7] op_sel:[0,0,1] op_sel_hi:[1,1,0] neg_lo:[0,0,1] neg_hi:[0,0,1]
	v_mov_b32_e32 v47, v19
	v_pk_fma_f32 v[18:19], v[112:113], v[50:51], v[12:13] op_sel:[0,0,1] op_sel_hi:[1,1,0]
	v_pk_fma_f32 v[12:13], v[112:113], v[50:51], v[12:13] op_sel:[0,0,1] op_sel_hi:[1,1,0] neg_lo:[0,0,1] neg_hi:[0,0,1]
	v_pk_mul_f32 v[8:9], v[8:9], v[54:55]
	v_pk_fma_f32 v[50:51], v[106:107], v[56:57], v[10:11] op_sel:[0,0,1] op_sel_hi:[1,1,0]
	v_pk_fma_f32 v[10:11], v[106:107], v[56:57], v[10:11] op_sel:[0,0,1] op_sel_hi:[1,1,0] neg_lo:[0,0,1] neg_hi:[0,0,1]
	v_pk_mul_f32 v[4:5], v[4:5], v[58:59]
	v_mov_b32_e32 v53, v7
	v_pk_mul_f32 v[6:7], v[82:83], v[122:123]
	v_mov_b32_e32 v49, v15
	v_pk_fma_f32 v[14:15], v[108:109], v[54:55], v[8:9] op_sel:[0,0,1] op_sel_hi:[1,1,0]
	v_pk_fma_f32 v[8:9], v[108:109], v[54:55], v[8:9] op_sel:[0,0,1] op_sel_hi:[1,1,0] neg_lo:[0,0,1] neg_hi:[0,0,1]
	v_mov_b32_e32 v51, v11
	v_pk_fma_f32 v[10:11], v[104:105], v[58:59], v[4:5] op_sel:[0,0,1] op_sel_hi:[1,1,0]
	v_pk_fma_f32 v[54:55], v[100:101], v[122:123], v[6:7] op_sel:[0,0,1] op_sel_hi:[1,1,0]
	v_pk_fma_f32 v[4:5], v[104:105], v[58:59], v[4:5] op_sel:[0,0,1] op_sel_hi:[1,1,0] neg_lo:[0,0,1] neg_hi:[0,0,1]
	v_mov_b32_e32 v102, v18
	v_mov_b32_e32 v103, v54
	;; [unrolled: 1-line block ×4, first 2 shown]
	v_pk_add_f32 v[106:107], v[102:103], v[104:105] neg_lo:[0,1] neg_hi:[0,1]
	v_mad_u64_u32 v[2:3], s[0:1], s6, v68, 0
	v_mov_b32_e32 v15, v9
	v_mov_b32_e32 v11, v5
	v_pk_fma_f32 v[6:7], v[100:101], v[122:123], v[6:7] op_sel:[0,0,1] op_sel_hi:[1,1,0] neg_lo:[0,0,1] neg_hi:[0,0,1]
	v_mov_b32_e32 v4, v107
	v_mov_b32_e32 v19, v13
	;; [unrolled: 1-line block ×3, first 2 shown]
	v_pk_add_f32 v[58:59], v[14:15], v[10:11]
	v_pk_add_f32 v[100:101], v[14:15], v[10:11] neg_lo:[0,1] neg_hi:[0,1]
	v_pk_add_f32 v[106:107], v[106:107], v[4:5]
	s_mov_b32 s0, 0x3e9e377a
	v_fma_f32 v6, -0.5, v58, v40
	v_pk_add_f32 v[82:83], v[18:19], v[54:55] neg_lo:[0,1] neg_hi:[0,1]
	v_mov_b32_e32 v107, v101
	s_mov_b32 s1, 0x3f167918
	v_fmamk_f32 v8, v83, 0xbf737871, v6
	v_pk_mul_f32 v[106:107], v[106:107], s[0:1]
	v_fmac_f32_e32 v6, 0x3f737871, v83
	v_sub_f32_e32 v4, v8, v107
	v_add_f32_e32 v8, v106, v4
	v_add_f32_e32 v4, v107, v6
	v_pk_add_f32 v[102:103], v[104:105], v[102:103] neg_lo:[0,1] neg_hi:[0,1]
	v_add_f32_e32 v12, v106, v4
	v_mov_b32_e32 v4, v103
	v_pk_add_f32 v[106:107], v[18:19], v[54:55]
	v_mov_b32_e32 v6, v40
	v_pk_add_f32 v[102:103], v[102:103], v[4:5]
	v_fmac_f32_e32 v6, -0.5, v106
	v_mov_b32_e32 v103, v83
	v_fmamk_f32 v16, v101, 0x3f737871, v6
	v_pk_mul_f32 v[102:103], v[102:103], s[0:1]
	v_mov_b32_e32 v41, v17
	v_sub_f32_e32 v4, v16, v103
	v_fmac_f32_e32 v6, 0xbf737871, v101
	v_add_f32_e32 v16, v102, v4
	v_add_f32_e32 v4, v103, v6
	v_pk_add_f32 v[18:19], v[40:41], v[18:19]
	v_add_f32_e32 v58, v102, v4
	v_pk_add_f32 v[14:15], v[18:19], v[14:15]
	v_mov_b32_e32 v6, v13
	v_mov_b32_e32 v4, v9
	v_pk_add_f32 v[10:11], v[14:15], v[10:11]
	v_pk_add_f32 v[14:15], v[6:7], v[4:5] neg_lo:[0,1] neg_hi:[0,1]
	v_fma_f32 v19, -0.5, v59, v17
	v_mov_b32_e32 v18, v15
	v_pk_add_f32 v[14:15], v[14:15], v[18:19]
	v_pk_add_f32 v[4:5], v[4:5], v[6:7] neg_lo:[0,1] neg_hi:[0,1]
	v_mov_b32_e32 v15, v100
	v_fmamk_f32 v40, v82, 0x3f737871, v19
	v_pk_mul_f32 v[14:15], v[14:15], s[0:1]
	v_mov_b32_e32 v6, v5
	v_add_f32_e32 v9, v15, v40
	v_fmac_f32_e32 v19, 0xbf737871, v82
	v_pk_add_f32 v[4:5], v[4:5], v[6:7]
	v_mov_b32_e32 v0, s2
	s_mov_b32 s2, 0x3f737871
	v_pk_add_f32 v[10:11], v[10:11], v[54:55]
	v_add_f32_e32 v18, v14, v9
	v_sub_f32_e32 v9, v19, v15
	v_fmac_f32_e32 v17, -0.5, v107
	v_mov_b32_e32 v5, v82
	v_pk_add_f32 v[54:55], v[48:49], v[50:51]
	v_pk_add_f32 v[82:83], v[46:47], v[52:53] neg_lo:[0,1] neg_hi:[0,1]
	v_add_f32_e32 v14, v14, v9
	v_fmamk_f32 v9, v100, 0xbf737871, v17
	v_fmac_f32_e32 v17, 0x3f737871, v100
	v_pk_fma_f32 v[54:55], v[54:55], 0.5, v[44:45] op_sel_hi:[1,0,1] neg_lo:[1,0,0] neg_hi:[1,0,0]
	v_pk_mul_f32 v[100:101], v[82:83], s[2:3] op_sel_hi:[1,0]
	v_pk_add_f32 v[102:103], v[48:49], v[50:51] neg_lo:[0,1] neg_hi:[0,1]
	s_mov_b32 s6, s1
	v_pk_add_f32 v[106:107], v[46:47], v[48:49] neg_lo:[0,1] neg_hi:[0,1]
	v_pk_add_f32 v[108:109], v[52:53], v[50:51] neg_lo:[0,1] neg_hi:[0,1]
	s_mov_b32 s10, 0x3f4f1bbd
	v_pk_add_f32 v[56:57], v[44:45], v[46:47]
	v_pk_mul_f32 v[104:105], v[102:103], s[6:7] op_sel_hi:[1,0]
	v_pk_add_f32 v[106:107], v[106:107], v[108:109]
	v_pk_add_f32 v[108:109], v[54:55], v[100:101] op_sel:[0,1] op_sel_hi:[1,0] neg_lo:[0,1] neg_hi:[0,1]
	v_pk_add_f32 v[54:55], v[54:55], v[100:101] op_sel:[0,1] op_sel_hi:[1,0]
	s_mov_b32 s8, s1
	s_mov_b32 s9, s10
	v_pk_add_f32 v[56:57], v[56:57], v[48:49]
	v_pk_mul_f32 v[4:5], v[4:5], s[0:1]
	v_pk_add_f32 v[54:55], v[54:55], v[104:105] op_sel:[0,1] op_sel_hi:[1,0]
	v_pk_add_f32 v[100:101], v[108:109], v[104:105] op_sel:[0,1] op_sel_hi:[1,0] neg_lo:[0,1] neg_hi:[0,1]
	s_mov_b32 s11, s1
	v_pk_mul_f32 v[18:19], v[18:19], s[8:9] op_sel_hi:[0,1]
	v_pk_add_f32 v[56:57], v[56:57], v[50:51]
	v_add_f32_e32 v6, v5, v9
	v_mov_b32_e32 v104, v100
	v_mov_b32_e32 v105, v55
	v_pk_fma_f32 v[108:109], v[8:9], s[10:11], v[18:19] neg_lo:[0,0,1] neg_hi:[0,0,1]
	v_pk_fma_f32 v[8:9], v[8:9], s[10:11], v[18:19] op_sel_hi:[0,1,1]
	v_pk_add_f32 v[56:57], v[56:57], v[52:53]
	v_pk_fma_f32 v[104:105], v[106:107], s[0:1], v[104:105] op_sel_hi:[1,0,1]
	v_mov_b32_e32 v109, v9
	v_mov_b32_e32 v1, s3
	v_add_f32_e32 v6, v4, v6
	v_pk_add_f32 v[40:41], v[56:57], v[10:11]
	v_pk_add_f32 v[8:9], v[104:105], v[108:109]
	s_mov_b32 s3, s0
	s_barrier
	ds_write2_b64 v119, v[40:41], v[8:9] offset1:4
	v_pk_add_f32 v[18:19], v[48:49], v[46:47] neg_lo:[0,1] neg_hi:[0,1]
	v_pk_add_f32 v[40:41], v[50:51], v[52:53] neg_lo:[0,1] neg_hi:[0,1]
	s_mov_b32 s12, s0
	s_mov_b32 s13, s2
	v_pk_mul_f32 v[6:7], v[6:7], s[2:3] op_sel_hi:[0,1]
	v_pk_add_f32 v[8:9], v[46:47], v[52:53]
	v_pk_add_f32 v[18:19], v[18:19], v[40:41]
	v_pk_fma_f32 v[40:41], v[16:17], s[12:13], v[6:7] neg_lo:[0,0,1] neg_hi:[0,0,1]
	v_pk_fma_f32 v[6:7], v[16:17], s[12:13], v[6:7] op_sel_hi:[0,1,1]
	v_pk_fma_f32 v[8:9], v[8:9], 0.5, v[44:45] op_sel_hi:[1,0,1] neg_lo:[1,0,0] neg_hi:[1,0,0]
	v_mov_b32_e32 v41, v7
	v_pk_mul_f32 v[6:7], v[102:103], s[2:3] op_sel_hi:[1,0]
	v_sub_f32_e32 v5, v17, v5
	v_pk_mul_f32 v[16:17], v[82:83], s[6:7] op_sel_hi:[1,0]
	v_pk_add_f32 v[44:45], v[8:9], v[6:7] op_sel:[0,1] op_sel_hi:[1,0]
	v_pk_add_f32 v[6:7], v[8:9], v[6:7] op_sel:[0,1] op_sel_hi:[1,0] neg_lo:[0,1] neg_hi:[0,1]
	v_add_f32_e32 v4, v4, v5
	v_pk_add_f32 v[6:7], v[6:7], v[16:17] op_sel:[0,1] op_sel_hi:[1,0]
	v_pk_add_f32 v[8:9], v[44:45], v[16:17] op_sel:[0,1] op_sel_hi:[1,0] neg_lo:[0,1] neg_hi:[0,1]
	v_mov_b32_e32 v17, v7
	v_mov_b32_e32 v16, v8
	s_mov_b32 s14, 0xbe9e377a
	s_mov_b32 s15, s2
	v_pk_mul_f32 v[4:5], v[4:5], s[2:3] op_sel_hi:[0,1]
	v_mov_b32_e32 v7, v9
	v_pk_fma_f32 v[16:17], v[18:19], s[0:1], v[16:17] op_sel_hi:[1,0,1]
	v_pk_fma_f32 v[4:5], v[58:59], s[14:15], v[4:5] op_sel_hi:[0,1,1] neg_lo:[0,0,1] neg_hi:[0,0,1]
	v_pk_fma_f32 v[6:7], v[18:19], s[0:1], v[6:7] op_sel_hi:[1,0,1]
	v_pk_add_f32 v[44:45], v[16:17], v[40:41]
	v_pk_add_f32 v[8:9], v[6:7], v[4:5]
	ds_write2_b64 v119, v[44:45], v[8:9] offset0:8 offset1:12
	s_mov_b32 s16, 0xbf4f1bbd
	s_mov_b32 s17, s1
	v_pk_mul_f32 v[8:9], v[14:15], s[8:9] op_sel_hi:[0,1]
	v_mov_b32_e32 v55, v101
	v_pk_fma_f32 v[8:9], v[12:13], s[16:17], v[8:9] op_sel_hi:[0,1,1] neg_lo:[0,0,1] neg_hi:[0,0,1]
	v_pk_fma_f32 v[12:13], v[106:107], s[0:1], v[54:55] op_sel_hi:[1,0,1]
	v_pk_add_f32 v[10:11], v[56:57], v[10:11] neg_lo:[0,1] neg_hi:[0,1]
	v_pk_add_f32 v[14:15], v[12:13], v[8:9]
	ds_write2_b64 v119, v[14:15], v[10:11] offset0:16 offset1:20
	v_pk_add_f32 v[10:11], v[104:105], v[108:109] neg_lo:[0,1] neg_hi:[0,1]
	v_pk_add_f32 v[14:15], v[16:17], v[40:41] neg_lo:[0,1] neg_hi:[0,1]
	;; [unrolled: 1-line block ×4, first 2 shown]
	ds_write2_b64 v119, v[10:11], v[14:15] offset0:24 offset1:28
	ds_write2_b64 v119, v[4:5], v[6:7] offset0:32 offset1:36
	s_waitcnt lgkmcnt(0)
	s_barrier
	ds_read2_b64 v[4:7], v69 offset1:40
	ds_read2_b64 v[8:11], v69 offset0:80 offset1:120
	ds_read2_b64 v[12:15], v69 offset0:160 offset1:200
	;; [unrolled: 1-line block ×4, first 2 shown]
	s_waitcnt lgkmcnt(4)
	v_pk_mul_f32 v[28:29], v[28:29], v[6:7]
	s_nop 0
	v_pk_fma_f32 v[40:41], v[98:99], v[6:7], v[28:29] op_sel:[0,0,1] op_sel_hi:[1,1,0]
	v_pk_fma_f32 v[6:7], v[98:99], v[6:7], v[28:29] op_sel:[0,0,1] op_sel_hi:[1,1,0] neg_lo:[0,0,1] neg_hi:[0,0,1]
	s_waitcnt lgkmcnt(3)
	v_pk_mul_f32 v[28:29], v[30:31], v[8:9]
	v_mov_b32_e32 v41, v7
	v_pk_fma_f32 v[30:31], v[96:97], v[8:9], v[28:29] op_sel:[0,0,1] op_sel_hi:[1,1,0]
	v_pk_fma_f32 v[8:9], v[96:97], v[8:9], v[28:29] op_sel:[0,0,1] op_sel_hi:[1,1,0] neg_lo:[0,0,1] neg_hi:[0,0,1]
	s_nop 0
	v_mov_b32_e32 v31, v9
	v_pk_mul_f32 v[8:9], v[24:25], v[10:11]
	s_nop 0
	v_pk_fma_f32 v[24:25], v[94:95], v[10:11], v[8:9] op_sel:[0,0,1] op_sel_hi:[1,1,0]
	v_pk_fma_f32 v[8:9], v[94:95], v[10:11], v[8:9] op_sel:[0,0,1] op_sel_hi:[1,1,0] neg_lo:[0,0,1] neg_hi:[0,0,1]
	s_waitcnt lgkmcnt(2)
	v_pk_mul_f32 v[10:11], v[26:27], v[12:13]
	v_mov_b32_e32 v25, v9
	v_pk_fma_f32 v[26:27], v[92:93], v[12:13], v[10:11] op_sel:[0,0,1] op_sel_hi:[1,1,0]
	v_pk_fma_f32 v[10:11], v[92:93], v[12:13], v[10:11] op_sel:[0,0,1] op_sel_hi:[1,1,0] neg_lo:[0,0,1] neg_hi:[0,0,1]
	s_nop 0
	v_mov_b32_e32 v27, v11
	;; [unrolled: 11-line block ×3, first 2 shown]
	v_pk_mul_f32 v[14:15], v[32:33], v[18:19]
	v_pk_add_f32 v[32:33], v[4:5], v[30:31]
	v_pk_fma_f32 v[16:17], v[86:87], v[18:19], v[14:15] op_sel:[0,0,1] op_sel_hi:[1,1,0]
	v_pk_fma_f32 v[14:15], v[86:87], v[18:19], v[14:15] op_sel:[0,0,1] op_sel_hi:[1,1,0] neg_lo:[0,0,1] neg_hi:[0,0,1]
	s_waitcnt lgkmcnt(0)
	v_pk_mul_f32 v[18:19], v[34:35], v[44:45]
	v_mov_b32_e32 v17, v15
	v_pk_fma_f32 v[22:23], v[42:43], v[44:45], v[18:19] op_sel:[0,0,1] op_sel_hi:[1,1,0]
	v_pk_fma_f32 v[18:19], v[42:43], v[44:45], v[18:19] op_sel:[0,0,1] op_sel_hi:[1,1,0] neg_lo:[0,0,1] neg_hi:[0,0,1]
	v_mov_b32_e32 v44, v24
	v_mov_b32_e32 v23, v19
	v_pk_mul_f32 v[18:19], v[84:85], v[46:47]
	v_pk_add_f32 v[34:35], v[12:13], v[16:17]
	v_pk_fma_f32 v[28:29], v[38:39], v[46:47], v[18:19] op_sel:[0,0,1] op_sel_hi:[1,1,0]
	v_pk_fma_f32 v[18:19], v[38:39], v[46:47], v[18:19] op_sel:[0,0,1] op_sel_hi:[1,1,0] neg_lo:[0,0,1] neg_hi:[0,0,1]
	v_mov_b32_e32 v45, v28
	v_mov_b32_e32 v46, v12
	;; [unrolled: 1-line block ×3, first 2 shown]
	v_pk_add_f32 v[48:49], v[44:45], v[46:47] neg_lo:[0,1] neg_hi:[0,1]
	v_mov_b32_e32 v29, v19
	v_mov_b32_e32 v6, v49
	v_pk_add_f32 v[42:43], v[12:13], v[16:17] neg_lo:[0,1] neg_hi:[0,1]
	v_pk_add_f32 v[48:49], v[48:49], v[6:7]
	v_fma_f32 v8, -0.5, v34, v40
	v_pk_add_f32 v[38:39], v[24:25], v[28:29] neg_lo:[0,1] neg_hi:[0,1]
	v_mov_b32_e32 v49, v43
	v_fmamk_f32 v10, v39, 0xbf737871, v8
	v_pk_mul_f32 v[48:49], v[48:49], s[0:1]
	v_fmac_f32_e32 v8, 0x3f737871, v39
	v_pk_add_f32 v[44:45], v[46:47], v[44:45] neg_lo:[0,1] neg_hi:[0,1]
	v_sub_f32_e32 v6, v10, v49
	v_add_f32_e32 v8, v49, v8
	v_mov_b32_e32 v10, v45
	v_add_f32_e32 v6, v48, v6
	v_add_f32_e32 v8, v48, v8
	v_pk_add_f32 v[48:49], v[24:25], v[28:29]
	v_mov_b32_e32 v14, v40
	v_pk_add_f32 v[44:45], v[44:45], v[10:11]
	v_fmac_f32_e32 v14, -0.5, v48
	v_mov_b32_e32 v45, v39
	v_fmamk_f32 v18, v43, 0x3f737871, v14
	v_pk_mul_f32 v[44:45], v[44:45], s[0:1]
	v_fmac_f32_e32 v14, 0xbf737871, v43
	v_add_f32_e32 v14, v45, v14
	v_pk_add_f32 v[24:25], v[40:41], v[24:25]
	v_sub_f32_e32 v10, v18, v45
	v_add_f32_e32 v34, v44, v14
	v_pk_add_f32 v[12:13], v[24:25], v[12:13]
	v_mov_b32_e32 v18, v9
	v_mov_b32_e32 v14, v11
	v_pk_add_f32 v[12:13], v[12:13], v[16:17]
	v_pk_add_f32 v[16:17], v[18:19], v[14:15] neg_lo:[0,1] neg_hi:[0,1]
	v_fma_f32 v25, -0.5, v35, v7
	v_mov_b32_e32 v24, v17
	v_pk_add_f32 v[16:17], v[16:17], v[24:25]
	v_pk_add_f32 v[14:15], v[14:15], v[18:19] neg_lo:[0,1] neg_hi:[0,1]
	v_mov_b32_e32 v17, v42
	v_pk_add_f32 v[12:13], v[12:13], v[28:29]
	v_fmamk_f32 v28, v38, 0x3f737871, v25
	v_pk_mul_f32 v[16:17], v[16:17], s[0:1]
	v_mov_b32_e32 v18, v15
	v_add_f32_e32 v9, v17, v28
	v_fmac_f32_e32 v25, 0xbf737871, v38
	v_pk_add_f32 v[14:15], v[14:15], v[18:19]
	v_add_f32_e32 v24, v16, v9
	v_sub_f32_e32 v9, v25, v17
	v_fmac_f32_e32 v7, -0.5, v49
	v_mov_b32_e32 v15, v38
	v_pk_add_f32 v[38:39], v[26:27], v[20:21]
	v_pk_add_f32 v[40:41], v[30:31], v[22:23] neg_lo:[0,1] neg_hi:[0,1]
	v_add_f32_e32 v10, v44, v10
	v_add_f32_e32 v16, v16, v9
	v_fmamk_f32 v9, v42, 0xbf737871, v7
	v_fmac_f32_e32 v7, 0x3f737871, v42
	v_pk_fma_f32 v[38:39], v[38:39], 0.5, v[4:5] op_sel_hi:[1,0,1] neg_lo:[1,0,0] neg_hi:[1,0,0]
	v_pk_mul_f32 v[42:43], v[40:41], s[2:3] op_sel_hi:[1,0]
	v_pk_add_f32 v[44:45], v[26:27], v[20:21] neg_lo:[0,1] neg_hi:[0,1]
	v_pk_add_f32 v[48:49], v[30:31], v[26:27] neg_lo:[0,1] neg_hi:[0,1]
	v_pk_add_f32 v[50:51], v[22:23], v[20:21] neg_lo:[0,1] neg_hi:[0,1]
	v_pk_mul_f32 v[14:15], v[14:15], s[0:1]
	v_pk_mul_f32 v[46:47], v[44:45], s[6:7] op_sel_hi:[1,0]
	v_pk_add_f32 v[48:49], v[48:49], v[50:51]
	v_pk_add_f32 v[50:51], v[38:39], v[42:43] op_sel:[0,1] op_sel_hi:[1,0] neg_lo:[0,1] neg_hi:[0,1]
	v_pk_add_f32 v[38:39], v[38:39], v[42:43] op_sel:[0,1] op_sel_hi:[1,0]
	v_pk_add_f32 v[32:33], v[32:33], v[26:27]
	v_add_f32_e32 v9, v15, v9
	v_sub_f32_e32 v7, v7, v15
	v_pk_add_f32 v[38:39], v[38:39], v[46:47] op_sel:[0,1] op_sel_hi:[1,0]
	v_pk_add_f32 v[42:43], v[50:51], v[46:47] op_sel:[0,1] op_sel_hi:[1,0] neg_lo:[0,1] neg_hi:[0,1]
	v_pk_mul_f32 v[24:25], v[24:25], s[8:9] op_sel_hi:[0,1]
	v_pk_add_f32 v[32:33], v[32:33], v[20:21]
	v_add_f32_e32 v18, v14, v9
	v_add_f32_e32 v14, v14, v7
	v_mov_b32_e32 v46, v42
	v_mov_b32_e32 v47, v39
	v_pk_fma_f32 v[50:51], v[6:7], s[10:11], v[24:25] neg_lo:[0,0,1] neg_hi:[0,0,1]
	v_pk_fma_f32 v[6:7], v[6:7], s[10:11], v[24:25] op_sel_hi:[0,1,1]
	v_pk_add_f32 v[32:33], v[32:33], v[22:23]
	v_pk_fma_f32 v[46:47], v[48:49], s[0:1], v[46:47] op_sel_hi:[1,0,1]
	v_mov_b32_e32 v51, v7
	v_pk_add_f32 v[28:29], v[32:33], v[12:13]
	v_pk_add_f32 v[6:7], v[46:47], v[50:51]
	ds_write2_b64 v69, v[28:29], v[6:7] offset1:40
	v_pk_add_f32 v[6:7], v[30:31], v[22:23]
	v_pk_add_f32 v[20:21], v[20:21], v[22:23] neg_lo:[0,1] neg_hi:[0,1]
	v_pk_fma_f32 v[4:5], v[6:7], 0.5, v[4:5] op_sel_hi:[1,0,1] neg_lo:[1,0,0] neg_hi:[1,0,0]
	v_pk_add_f32 v[6:7], v[26:27], v[30:31] neg_lo:[0,1] neg_hi:[0,1]
	v_pk_mul_f32 v[18:19], v[18:19], s[2:3] op_sel_hi:[0,1]
	v_pk_add_f32 v[6:7], v[6:7], v[20:21]
	v_pk_fma_f32 v[20:21], v[10:11], s[12:13], v[18:19] neg_lo:[0,0,1] neg_hi:[0,0,1]
	v_pk_fma_f32 v[10:11], v[10:11], s[12:13], v[18:19] op_sel_hi:[0,1,1]
	v_mov_b32_e32 v21, v11
	v_pk_mul_f32 v[10:11], v[44:45], s[2:3] op_sel_hi:[1,0]
	v_pk_mul_f32 v[18:19], v[40:41], s[6:7] op_sel_hi:[1,0]
	v_pk_add_f32 v[22:23], v[4:5], v[10:11] op_sel:[0,1] op_sel_hi:[1,0]
	v_pk_add_f32 v[4:5], v[4:5], v[10:11] op_sel:[0,1] op_sel_hi:[1,0] neg_lo:[0,1] neg_hi:[0,1]
	v_pk_add_f32 v[10:11], v[22:23], v[18:19] op_sel:[0,1] op_sel_hi:[1,0] neg_lo:[0,1] neg_hi:[0,1]
	v_pk_add_f32 v[4:5], v[4:5], v[18:19] op_sel:[0,1] op_sel_hi:[1,0]
	v_mov_b32_e32 v18, v10
	v_mov_b32_e32 v19, v5
	v_pk_mul_f32 v[14:15], v[14:15], s[2:3] op_sel_hi:[0,1]
	v_mov_b32_e32 v5, v11
	v_pk_fma_f32 v[18:19], v[6:7], s[0:1], v[18:19] op_sel_hi:[1,0,1]
	v_pk_fma_f32 v[14:15], v[34:35], s[14:15], v[14:15] op_sel_hi:[0,1,1] neg_lo:[0,0,1] neg_hi:[0,0,1]
	v_pk_fma_f32 v[4:5], v[6:7], s[0:1], v[4:5] op_sel_hi:[1,0,1]
	v_pk_add_f32 v[22:23], v[18:19], v[20:21]
	v_pk_add_f32 v[6:7], v[4:5], v[14:15]
	ds_write2_b64 v69, v[22:23], v[6:7] offset0:80 offset1:120
	v_pk_mul_f32 v[6:7], v[16:17], s[8:9] op_sel_hi:[0,1]
	v_mov_b32_e32 v39, v43
	v_pk_fma_f32 v[6:7], v[8:9], s[16:17], v[6:7] op_sel_hi:[0,1,1] neg_lo:[0,0,1] neg_hi:[0,0,1]
	v_pk_fma_f32 v[8:9], v[48:49], s[0:1], v[38:39] op_sel_hi:[1,0,1]
	v_pk_add_f32 v[12:13], v[32:33], v[12:13] neg_lo:[0,1] neg_hi:[0,1]
	v_pk_add_f32 v[10:11], v[8:9], v[6:7]
	ds_write2_b64 v69, v[10:11], v[12:13] offset0:160 offset1:200
	v_pk_add_f32 v[10:11], v[46:47], v[50:51] neg_lo:[0,1] neg_hi:[0,1]
	v_pk_add_f32 v[12:13], v[18:19], v[20:21] neg_lo:[0,1] neg_hi:[0,1]
	;; [unrolled: 1-line block ×4, first 2 shown]
	ds_write2_b64 v37, v[10:11], v[12:13] offset0:112 offset1:152
	ds_write2_b64 v36, v[4:5], v[6:7] offset0:64 offset1:104
	s_waitcnt lgkmcnt(0)
	s_barrier
	ds_read2_b64 v[4:7], v69 offset1:40
	v_mov_b32_e32 v8, v3
	v_mad_u64_u32 v[8:9], s[0:1], s7, v68, v[8:9]
	v_mov_b32_e32 v3, v8
	s_waitcnt lgkmcnt(0)
	v_mul_f32_e32 v8, v81, v5
	v_fmac_f32_e32 v8, v80, v4
	v_mul_f32_e32 v4, v81, v4
	s_mov_b32 s0, 0x47ae147b
	v_fma_f32 v4, v80, v5, -v4
	s_mov_b32 s1, 0x3f647ae1
	v_cvt_f64_f32_e32 v[4:5], v4
	v_cvt_f64_f32_e32 v[8:9], v8
	v_mul_f64 v[4:5], v[4:5], s[0:1]
	v_mul_f64 v[8:9], v[8:9], s[0:1]
	v_cvt_f32_f64_e32 v13, v[4:5]
	v_mad_u64_u32 v[4:5], s[2:3], s4, v62, 0
	v_cvt_f32_f64_e32 v12, v[8:9]
	v_mov_b32_e32 v8, v5
	v_mad_u64_u32 v[14:15], s[2:3], s5, v62, v[8:9]
	ds_read2_b64 v[8:11], v69 offset0:100 offset1:140
	v_mov_b32_e32 v5, v14
	v_lshl_add_u64 v[0:1], v[2:3], 3, v[0:1]
	v_lshl_add_u64 v[4:5], v[4:5], 3, v[0:1]
	global_store_dwordx2 v[4:5], v[12:13], off
	s_waitcnt lgkmcnt(0)
	v_mul_f32_e32 v0, v79, v9
	v_fmac_f32_e32 v0, v78, v8
	v_cvt_f64_f32_e32 v[0:1], v0
	v_mul_f64 v[0:1], v[0:1], s[0:1]
	v_cvt_f32_f64_e32 v12, v[0:1]
	v_mul_f32_e32 v0, v79, v8
	v_fma_f32 v0, v78, v9, -v0
	v_cvt_f64_f32_e32 v[0:1], v0
	v_mul_f64 v[0:1], v[0:1], s[0:1]
	v_cvt_f32_f64_e32 v13, v[0:1]
	ds_read2_b64 v[0:3], v69 offset0:200 offset1:240
	s_mul_i32 s2, s5, 0x64
	s_mul_hi_u32 s3, s4, 0x64
	s_add_i32 s3, s3, s2
	s_mul_i32 s2, s4, 0x64
	s_lshl_b64 s[2:3], s[2:3], 3
	v_lshl_add_u64 v[4:5], v[4:5], 0, s[2:3]
	global_store_dwordx2 v[4:5], v[12:13], off
	s_waitcnt lgkmcnt(0)
	v_mul_f32_e32 v8, v75, v1
	ds_read2_b64 v[12:15], v36 offset0:44 offset1:84
	v_fmac_f32_e32 v8, v74, v0
	v_mul_f32_e32 v0, v75, v0
	v_fma_f32 v0, v74, v1, -v0
	v_cvt_f64_f32_e32 v[8:9], v8
	v_cvt_f64_f32_e32 v[0:1], v0
	v_mul_f64 v[8:9], v[8:9], s[0:1]
	v_mul_f64 v[0:1], v[0:1], s[0:1]
	v_cvt_f32_f64_e32 v8, v[8:9]
	v_cvt_f32_f64_e32 v9, v[0:1]
	v_lshl_add_u64 v[0:1], v[4:5], 0, s[2:3]
	s_waitcnt lgkmcnt(0)
	v_mul_f32_e32 v4, v71, v13
	v_fmac_f32_e32 v4, v70, v12
	v_cvt_f64_f32_e32 v[4:5], v4
	v_mul_f64 v[4:5], v[4:5], s[0:1]
	v_cvt_f32_f64_e32 v4, v[4:5]
	v_mul_f32_e32 v5, v71, v12
	v_fma_f32 v5, v70, v13, -v5
	global_store_dwordx2 v[0:1], v[8:9], off
	v_cvt_f64_f32_e32 v[8:9], v5
	v_mul_f64 v[8:9], v[8:9], s[0:1]
	v_cvt_f32_f64_e32 v5, v[8:9]
	v_lshl_add_u64 v[0:1], v[0:1], 0, s[2:3]
	global_store_dwordx2 v[0:1], v[4:5], off
	v_mul_f32_e32 v4, v77, v7
	v_fmac_f32_e32 v4, v76, v6
	v_cvt_f64_f32_e32 v[4:5], v4
	v_mul_f64 v[4:5], v[4:5], s[0:1]
	v_cvt_f32_f64_e32 v4, v[4:5]
	v_mul_f32_e32 v5, v77, v6
	v_fma_f32 v5, v76, v7, -v5
	s_mul_hi_u32 s6, s4, 0xfffffefc
	v_cvt_f64_f32_e32 v[6:7], v5
	s_mulk_i32 s5, 0xfefc
	s_sub_i32 s6, s6, s4
	v_mul_f64 v[6:7], v[6:7], s[0:1]
	s_add_i32 s5, s6, s5
	s_mulk_i32 s4, 0xfefc
	v_cvt_f32_f64_e32 v5, v[6:7]
	v_lshl_add_u64 v[0:1], s[4:5], 3, v[0:1]
	global_store_dwordx2 v[0:1], v[4:5], off
	v_mul_f32_e32 v4, v67, v11
	v_fmac_f32_e32 v4, v66, v10
	v_cvt_f64_f32_e32 v[4:5], v4
	v_mul_f64 v[4:5], v[4:5], s[0:1]
	v_cvt_f32_f64_e32 v4, v[4:5]
	v_mul_f32_e32 v5, v67, v10
	v_fma_f32 v5, v66, v11, -v5
	v_cvt_f64_f32_e32 v[6:7], v5
	v_mul_f64 v[6:7], v[6:7], s[0:1]
	v_cvt_f32_f64_e32 v5, v[6:7]
	v_lshl_add_u64 v[0:1], v[0:1], 0, s[2:3]
	global_store_dwordx2 v[0:1], v[4:5], off
	v_mul_f32_e32 v4, v73, v3
	v_fmac_f32_e32 v4, v72, v2
	v_mul_f32_e32 v2, v73, v2
	v_fma_f32 v2, v72, v3, -v2
	v_cvt_f64_f32_e32 v[4:5], v4
	v_cvt_f64_f32_e32 v[2:3], v2
	v_mul_f64 v[4:5], v[4:5], s[0:1]
	v_mul_f64 v[2:3], v[2:3], s[0:1]
	v_cvt_f32_f64_e32 v4, v[4:5]
	v_cvt_f32_f64_e32 v5, v[2:3]
	v_mul_f32_e32 v2, v65, v15
	v_fmac_f32_e32 v2, v64, v14
	v_cvt_f64_f32_e32 v[2:3], v2
	v_mul_f64 v[2:3], v[2:3], s[0:1]
	v_cvt_f32_f64_e32 v2, v[2:3]
	v_mul_f32_e32 v3, v65, v14
	v_lshl_add_u64 v[0:1], v[0:1], 0, s[2:3]
	v_fma_f32 v3, v64, v15, -v3
	global_store_dwordx2 v[0:1], v[4:5], off
	v_cvt_f64_f32_e32 v[4:5], v3
	v_mul_f64 v[4:5], v[4:5], s[0:1]
	v_cvt_f32_f64_e32 v3, v[4:5]
	v_lshl_add_u64 v[0:1], v[0:1], 0, s[2:3]
	global_store_dwordx2 v[0:1], v[2:3], off
	s_and_b64 exec, exec, vcc
	s_cbranch_execz .LBB0_15
; %bb.14:
	global_load_dwordx2 v[10:11], v[60:61], off offset:640
	global_load_dwordx2 v[12:13], v[60:61], off offset:1440
	global_load_dwordx2 v[14:15], v[60:61], off offset:2240
	global_load_dwordx2 v[16:17], v[60:61], off offset:3040
	ds_read2_b64 v[2:5], v69 offset0:80 offset1:180
	ds_read2_b64 v[6:9], v36 offset0:24 offset1:124
	v_lshl_add_u64 v[0:1], s[4:5], 3, v[0:1]
	v_lshl_add_u64 v[18:19], v[0:1], 0, s[2:3]
	;; [unrolled: 1-line block ×4, first 2 shown]
	s_waitcnt vmcnt(3) lgkmcnt(1)
	v_mul_f32_e32 v24, v3, v11
	v_mul_f32_e32 v11, v2, v11
	s_waitcnt vmcnt(2)
	v_mul_f32_e32 v25, v5, v13
	v_mul_f32_e32 v13, v4, v13
	s_waitcnt vmcnt(1) lgkmcnt(0)
	v_mul_f32_e32 v26, v7, v15
	v_mul_f32_e32 v15, v6, v15
	s_waitcnt vmcnt(0)
	v_mul_f32_e32 v27, v9, v17
	v_mul_f32_e32 v17, v8, v17
	v_fmac_f32_e32 v24, v2, v10
	v_fma_f32 v10, v10, v3, -v11
	v_fmac_f32_e32 v25, v4, v12
	v_fma_f32 v11, v12, v5, -v13
	;; [unrolled: 2-line block ×4, first 2 shown]
	v_cvt_f64_f32_e32 v[2:3], v24
	v_cvt_f64_f32_e32 v[4:5], v10
	;; [unrolled: 1-line block ×8, first 2 shown]
	v_mul_f64 v[2:3], v[2:3], s[0:1]
	v_mul_f64 v[4:5], v[4:5], s[0:1]
	;; [unrolled: 1-line block ×8, first 2 shown]
	v_cvt_f32_f64_e32 v2, v[2:3]
	v_cvt_f32_f64_e32 v3, v[4:5]
	;; [unrolled: 1-line block ×8, first 2 shown]
	global_store_dwordx2 v[0:1], v[2:3], off
	global_store_dwordx2 v[18:19], v[4:5], off
	;; [unrolled: 1-line block ×4, first 2 shown]
.LBB0_15:
	s_endpgm
	.section	.rodata,"a",@progbits
	.p2align	6, 0x0
	.amdhsa_kernel bluestein_single_fwd_len400_dim1_sp_op_CI_CI
		.amdhsa_group_segment_fixed_size 9600
		.amdhsa_private_segment_fixed_size 0
		.amdhsa_kernarg_size 104
		.amdhsa_user_sgpr_count 2
		.amdhsa_user_sgpr_dispatch_ptr 0
		.amdhsa_user_sgpr_queue_ptr 0
		.amdhsa_user_sgpr_kernarg_segment_ptr 1
		.amdhsa_user_sgpr_dispatch_id 0
		.amdhsa_user_sgpr_kernarg_preload_length 0
		.amdhsa_user_sgpr_kernarg_preload_offset 0
		.amdhsa_user_sgpr_private_segment_size 0
		.amdhsa_uses_dynamic_stack 0
		.amdhsa_enable_private_segment 0
		.amdhsa_system_sgpr_workgroup_id_x 1
		.amdhsa_system_sgpr_workgroup_id_y 0
		.amdhsa_system_sgpr_workgroup_id_z 0
		.amdhsa_system_sgpr_workgroup_info 0
		.amdhsa_system_vgpr_workitem_id 0
		.amdhsa_next_free_vgpr 130
		.amdhsa_next_free_sgpr 22
		.amdhsa_accum_offset 132
		.amdhsa_reserve_vcc 1
		.amdhsa_float_round_mode_32 0
		.amdhsa_float_round_mode_16_64 0
		.amdhsa_float_denorm_mode_32 3
		.amdhsa_float_denorm_mode_16_64 3
		.amdhsa_dx10_clamp 1
		.amdhsa_ieee_mode 1
		.amdhsa_fp16_overflow 0
		.amdhsa_tg_split 0
		.amdhsa_exception_fp_ieee_invalid_op 0
		.amdhsa_exception_fp_denorm_src 0
		.amdhsa_exception_fp_ieee_div_zero 0
		.amdhsa_exception_fp_ieee_overflow 0
		.amdhsa_exception_fp_ieee_underflow 0
		.amdhsa_exception_fp_ieee_inexact 0
		.amdhsa_exception_int_div_zero 0
	.end_amdhsa_kernel
	.text
.Lfunc_end0:
	.size	bluestein_single_fwd_len400_dim1_sp_op_CI_CI, .Lfunc_end0-bluestein_single_fwd_len400_dim1_sp_op_CI_CI
                                        ; -- End function
	.section	.AMDGPU.csdata,"",@progbits
; Kernel info:
; codeLenInByte = 8648
; NumSgprs: 28
; NumVgprs: 130
; NumAgprs: 0
; TotalNumVgprs: 130
; ScratchSize: 0
; MemoryBound: 0
; FloatMode: 240
; IeeeMode: 1
; LDSByteSize: 9600 bytes/workgroup (compile time only)
; SGPRBlocks: 3
; VGPRBlocks: 16
; NumSGPRsForWavesPerEU: 28
; NumVGPRsForWavesPerEU: 130
; AccumOffset: 132
; Occupancy: 3
; WaveLimiterHint : 1
; COMPUTE_PGM_RSRC2:SCRATCH_EN: 0
; COMPUTE_PGM_RSRC2:USER_SGPR: 2
; COMPUTE_PGM_RSRC2:TRAP_HANDLER: 0
; COMPUTE_PGM_RSRC2:TGID_X_EN: 1
; COMPUTE_PGM_RSRC2:TGID_Y_EN: 0
; COMPUTE_PGM_RSRC2:TGID_Z_EN: 0
; COMPUTE_PGM_RSRC2:TIDIG_COMP_CNT: 0
; COMPUTE_PGM_RSRC3_GFX90A:ACCUM_OFFSET: 32
; COMPUTE_PGM_RSRC3_GFX90A:TG_SPLIT: 0
	.text
	.p2alignl 6, 3212836864
	.fill 256, 4, 3212836864
	.type	__hip_cuid_11272f52468fc544,@object ; @__hip_cuid_11272f52468fc544
	.section	.bss,"aw",@nobits
	.globl	__hip_cuid_11272f52468fc544
__hip_cuid_11272f52468fc544:
	.byte	0                               ; 0x0
	.size	__hip_cuid_11272f52468fc544, 1

	.ident	"AMD clang version 19.0.0git (https://github.com/RadeonOpenCompute/llvm-project roc-6.4.0 25133 c7fe45cf4b819c5991fe208aaa96edf142730f1d)"
	.section	".note.GNU-stack","",@progbits
	.addrsig
	.addrsig_sym __hip_cuid_11272f52468fc544
	.amdgpu_metadata
---
amdhsa.kernels:
  - .agpr_count:     0
    .args:
      - .actual_access:  read_only
        .address_space:  global
        .offset:         0
        .size:           8
        .value_kind:     global_buffer
      - .actual_access:  read_only
        .address_space:  global
        .offset:         8
        .size:           8
        .value_kind:     global_buffer
      - .actual_access:  read_only
        .address_space:  global
        .offset:         16
        .size:           8
        .value_kind:     global_buffer
      - .actual_access:  read_only
        .address_space:  global
        .offset:         24
        .size:           8
        .value_kind:     global_buffer
      - .actual_access:  read_only
        .address_space:  global
        .offset:         32
        .size:           8
        .value_kind:     global_buffer
      - .offset:         40
        .size:           8
        .value_kind:     by_value
      - .address_space:  global
        .offset:         48
        .size:           8
        .value_kind:     global_buffer
      - .address_space:  global
        .offset:         56
        .size:           8
        .value_kind:     global_buffer
      - .address_space:  global
        .offset:         64
        .size:           8
        .value_kind:     global_buffer
      - .address_space:  global
        .offset:         72
        .size:           8
        .value_kind:     global_buffer
      - .offset:         80
        .size:           4
        .value_kind:     by_value
      - .address_space:  global
        .offset:         88
        .size:           8
        .value_kind:     global_buffer
      - .address_space:  global
        .offset:         96
        .size:           8
        .value_kind:     global_buffer
    .group_segment_fixed_size: 9600
    .kernarg_segment_align: 8
    .kernarg_segment_size: 104
    .language:       OpenCL C
    .language_version:
      - 2
      - 0
    .max_flat_workgroup_size: 120
    .name:           bluestein_single_fwd_len400_dim1_sp_op_CI_CI
    .private_segment_fixed_size: 0
    .sgpr_count:     28
    .sgpr_spill_count: 0
    .symbol:         bluestein_single_fwd_len400_dim1_sp_op_CI_CI.kd
    .uniform_work_group_size: 1
    .uses_dynamic_stack: false
    .vgpr_count:     130
    .vgpr_spill_count: 0
    .wavefront_size: 64
amdhsa.target:   amdgcn-amd-amdhsa--gfx950
amdhsa.version:
  - 1
  - 2
...

	.end_amdgpu_metadata
